;; amdgpu-corpus repo=ROCm/rocFFT kind=compiled arch=gfx906 opt=O3
	.text
	.amdgcn_target "amdgcn-amd-amdhsa--gfx906"
	.amdhsa_code_object_version 6
	.protected	fft_rtc_fwd_len595_factors_7_17_5_wgs_51_tpt_17_halfLds_dp_ip_CI_unitstride_sbrr_dirReg ; -- Begin function fft_rtc_fwd_len595_factors_7_17_5_wgs_51_tpt_17_halfLds_dp_ip_CI_unitstride_sbrr_dirReg
	.globl	fft_rtc_fwd_len595_factors_7_17_5_wgs_51_tpt_17_halfLds_dp_ip_CI_unitstride_sbrr_dirReg
	.p2align	8
	.type	fft_rtc_fwd_len595_factors_7_17_5_wgs_51_tpt_17_halfLds_dp_ip_CI_unitstride_sbrr_dirReg,@function
fft_rtc_fwd_len595_factors_7_17_5_wgs_51_tpt_17_halfLds_dp_ip_CI_unitstride_sbrr_dirReg: ; @fft_rtc_fwd_len595_factors_7_17_5_wgs_51_tpt_17_halfLds_dp_ip_CI_unitstride_sbrr_dirReg
; %bb.0:
	s_mov_b64 s[62:63], s[2:3]
	s_mov_b64 s[60:61], s[0:1]
	s_load_dwordx2 s[2:3], s[4:5], 0x50
	s_load_dwordx4 s[8:11], s[4:5], 0x0
	s_load_dwordx2 s[12:13], s[4:5], 0x18
	v_mul_u32_u24_e32 v1, 0xf10, v0
	v_lshrrev_b32_e32 v1, 16, v1
	v_mad_u64_u32 v[4:5], s[0:1], s6, 3, v[1:2]
	v_mov_b32_e32 v6, 0
	s_waitcnt lgkmcnt(0)
	v_cmp_lt_u64_e64 s[0:1], s[10:11], 2
	v_mov_b32_e32 v5, v6
	s_add_u32 s60, s60, s7
	v_mov_b32_e32 v1, 0
	v_mov_b32_e32 v11, v5
	s_addc_u32 s61, s61, 0
	s_and_b64 vcc, exec, s[0:1]
	v_mov_b32_e32 v2, 0
	v_mov_b32_e32 v10, v4
	s_cbranch_vccnz .LBB0_8
; %bb.1:
	s_load_dwordx2 s[0:1], s[4:5], 0x10
	s_add_u32 s6, s12, 8
	s_addc_u32 s7, s13, 0
	v_mov_b32_e32 v1, 0
	v_mov_b32_e32 v9, v5
	s_waitcnt lgkmcnt(0)
	s_add_u32 s16, s0, 8
	s_mov_b64 s[14:15], 1
	v_mov_b32_e32 v2, 0
	s_addc_u32 s17, s1, 0
	v_mov_b32_e32 v8, v4
.LBB0_2:                                ; =>This Inner Loop Header: Depth=1
	s_load_dwordx2 s[18:19], s[16:17], 0x0
                                        ; implicit-def: $vgpr10_vgpr11
	s_waitcnt lgkmcnt(0)
	v_or_b32_e32 v7, s19, v9
	v_cmp_ne_u64_e32 vcc, 0, v[6:7]
	s_and_saveexec_b64 s[0:1], vcc
	s_xor_b64 s[20:21], exec, s[0:1]
	s_cbranch_execz .LBB0_4
; %bb.3:                                ;   in Loop: Header=BB0_2 Depth=1
	v_cvt_f32_u32_e32 v3, s18
	v_cvt_f32_u32_e32 v5, s19
	s_sub_u32 s0, 0, s18
	s_subb_u32 s1, 0, s19
	v_mac_f32_e32 v3, 0x4f800000, v5
	v_rcp_f32_e32 v3, v3
	v_mul_f32_e32 v3, 0x5f7ffffc, v3
	v_mul_f32_e32 v5, 0x2f800000, v3
	v_trunc_f32_e32 v5, v5
	v_mac_f32_e32 v3, 0xcf800000, v5
	v_cvt_u32_f32_e32 v5, v5
	v_cvt_u32_f32_e32 v3, v3
	v_mul_lo_u32 v7, s0, v5
	v_mul_hi_u32 v10, s0, v3
	v_mul_lo_u32 v12, s1, v3
	v_mul_lo_u32 v11, s0, v3
	v_add_u32_e32 v7, v10, v7
	v_add_u32_e32 v7, v7, v12
	v_mul_hi_u32 v10, v3, v11
	v_mul_lo_u32 v12, v3, v7
	v_mul_hi_u32 v14, v3, v7
	v_mul_hi_u32 v13, v5, v11
	v_mul_lo_u32 v11, v5, v11
	v_mul_hi_u32 v15, v5, v7
	v_add_co_u32_e32 v10, vcc, v10, v12
	v_addc_co_u32_e32 v12, vcc, 0, v14, vcc
	v_mul_lo_u32 v7, v5, v7
	v_add_co_u32_e32 v10, vcc, v10, v11
	v_addc_co_u32_e32 v10, vcc, v12, v13, vcc
	v_addc_co_u32_e32 v11, vcc, 0, v15, vcc
	v_add_co_u32_e32 v7, vcc, v10, v7
	v_addc_co_u32_e32 v10, vcc, 0, v11, vcc
	v_add_co_u32_e32 v3, vcc, v3, v7
	v_addc_co_u32_e32 v5, vcc, v5, v10, vcc
	v_mul_lo_u32 v7, s0, v5
	v_mul_hi_u32 v10, s0, v3
	v_mul_lo_u32 v11, s1, v3
	v_mul_lo_u32 v12, s0, v3
	v_add_u32_e32 v7, v10, v7
	v_add_u32_e32 v7, v7, v11
	v_mul_lo_u32 v13, v3, v7
	v_mul_hi_u32 v14, v3, v12
	v_mul_hi_u32 v15, v3, v7
	;; [unrolled: 1-line block ×3, first 2 shown]
	v_mul_lo_u32 v12, v5, v12
	v_mul_hi_u32 v10, v5, v7
	v_add_co_u32_e32 v13, vcc, v14, v13
	v_addc_co_u32_e32 v14, vcc, 0, v15, vcc
	v_mul_lo_u32 v7, v5, v7
	v_add_co_u32_e32 v12, vcc, v13, v12
	v_addc_co_u32_e32 v11, vcc, v14, v11, vcc
	v_addc_co_u32_e32 v10, vcc, 0, v10, vcc
	v_add_co_u32_e32 v7, vcc, v11, v7
	v_addc_co_u32_e32 v10, vcc, 0, v10, vcc
	v_add_co_u32_e32 v3, vcc, v3, v7
	v_addc_co_u32_e32 v5, vcc, v5, v10, vcc
	v_mad_u64_u32 v[10:11], s[0:1], v8, v5, 0
	v_mul_hi_u32 v7, v8, v3
	v_mad_u64_u32 v[12:13], s[0:1], v9, v5, 0
	v_add_co_u32_e32 v7, vcc, v7, v10
	v_addc_co_u32_e32 v14, vcc, 0, v11, vcc
	v_mad_u64_u32 v[10:11], s[0:1], v9, v3, 0
	v_add_co_u32_e32 v3, vcc, v7, v10
	v_addc_co_u32_e32 v3, vcc, v14, v11, vcc
	v_addc_co_u32_e32 v5, vcc, 0, v13, vcc
	v_add_co_u32_e32 v3, vcc, v3, v12
	v_addc_co_u32_e32 v5, vcc, 0, v5, vcc
	v_mul_lo_u32 v7, s19, v3
	v_mul_lo_u32 v12, s18, v5
	v_mad_u64_u32 v[10:11], s[0:1], s18, v3, 0
	v_add3_u32 v7, v11, v12, v7
	v_sub_u32_e32 v11, v9, v7
	v_mov_b32_e32 v12, s19
	v_sub_co_u32_e32 v10, vcc, v8, v10
	v_subb_co_u32_e64 v11, s[0:1], v11, v12, vcc
	v_subrev_co_u32_e64 v12, s[0:1], s18, v10
	v_subbrev_co_u32_e64 v11, s[0:1], 0, v11, s[0:1]
	v_cmp_le_u32_e64 s[0:1], s19, v11
	v_cndmask_b32_e64 v13, 0, -1, s[0:1]
	v_cmp_le_u32_e64 s[0:1], s18, v12
	v_cndmask_b32_e64 v12, 0, -1, s[0:1]
	v_cmp_eq_u32_e64 s[0:1], s19, v11
	v_cndmask_b32_e64 v11, v13, v12, s[0:1]
	v_add_co_u32_e64 v12, s[0:1], 2, v3
	v_addc_co_u32_e64 v13, s[0:1], 0, v5, s[0:1]
	v_add_co_u32_e64 v14, s[0:1], 1, v3
	v_addc_co_u32_e64 v15, s[0:1], 0, v5, s[0:1]
	v_subb_co_u32_e32 v7, vcc, v9, v7, vcc
	v_cmp_ne_u32_e64 s[0:1], 0, v11
	v_cmp_le_u32_e32 vcc, s19, v7
	v_cndmask_b32_e64 v11, v15, v13, s[0:1]
	v_cndmask_b32_e64 v13, 0, -1, vcc
	v_cmp_le_u32_e32 vcc, s18, v10
	v_cndmask_b32_e64 v10, 0, -1, vcc
	v_cmp_eq_u32_e32 vcc, s19, v7
	v_cndmask_b32_e32 v7, v13, v10, vcc
	v_cmp_ne_u32_e32 vcc, 0, v7
	v_cndmask_b32_e32 v11, v5, v11, vcc
	v_cndmask_b32_e64 v5, v14, v12, s[0:1]
	v_cndmask_b32_e32 v10, v3, v5, vcc
.LBB0_4:                                ;   in Loop: Header=BB0_2 Depth=1
	s_andn2_saveexec_b64 s[0:1], s[20:21]
	s_cbranch_execz .LBB0_6
; %bb.5:                                ;   in Loop: Header=BB0_2 Depth=1
	v_cvt_f32_u32_e32 v3, s18
	s_sub_i32 s20, 0, s18
	v_mov_b32_e32 v11, v6
	v_rcp_iflag_f32_e32 v3, v3
	v_mul_f32_e32 v3, 0x4f7ffffe, v3
	v_cvt_u32_f32_e32 v3, v3
	v_mul_lo_u32 v5, s20, v3
	v_mul_hi_u32 v5, v3, v5
	v_add_u32_e32 v3, v3, v5
	v_mul_hi_u32 v3, v8, v3
	v_mul_lo_u32 v5, v3, s18
	v_add_u32_e32 v7, 1, v3
	v_sub_u32_e32 v5, v8, v5
	v_subrev_u32_e32 v10, s18, v5
	v_cmp_le_u32_e32 vcc, s18, v5
	v_cndmask_b32_e32 v5, v5, v10, vcc
	v_cndmask_b32_e32 v3, v3, v7, vcc
	v_add_u32_e32 v7, 1, v3
	v_cmp_le_u32_e32 vcc, s18, v5
	v_cndmask_b32_e32 v10, v3, v7, vcc
.LBB0_6:                                ;   in Loop: Header=BB0_2 Depth=1
	s_or_b64 exec, exec, s[0:1]
	v_mul_lo_u32 v3, v11, s18
	v_mul_lo_u32 v5, v10, s19
	v_mad_u64_u32 v[12:13], s[0:1], v10, s18, 0
	s_load_dwordx2 s[0:1], s[6:7], 0x0
	s_add_u32 s14, s14, 1
	v_add3_u32 v3, v13, v5, v3
	v_sub_co_u32_e32 v5, vcc, v8, v12
	v_subb_co_u32_e32 v3, vcc, v9, v3, vcc
	s_waitcnt lgkmcnt(0)
	v_mul_lo_u32 v3, s0, v3
	v_mul_lo_u32 v7, s1, v5
	v_mad_u64_u32 v[1:2], s[0:1], s0, v5, v[1:2]
	s_addc_u32 s15, s15, 0
	s_add_u32 s6, s6, 8
	v_add3_u32 v2, v7, v2, v3
	v_mov_b32_e32 v7, s10
	v_mov_b32_e32 v8, s11
	s_addc_u32 s7, s7, 0
	v_cmp_ge_u64_e32 vcc, s[14:15], v[7:8]
	s_add_u32 s16, s16, 8
	s_addc_u32 s17, s17, 0
	s_cbranch_vccnz .LBB0_8
; %bb.7:                                ;   in Loop: Header=BB0_2 Depth=1
	v_mov_b32_e32 v8, v10
	v_mov_b32_e32 v9, v11
	s_branch .LBB0_2
.LBB0_8:
	s_lshl_b64 s[0:1], s[10:11], 3
	s_add_u32 s0, s12, s0
	s_addc_u32 s1, s13, s1
	s_load_dwordx2 s[6:7], s[0:1], 0x0
	s_load_dwordx2 s[10:11], s[4:5], 0x20
                                        ; implicit-def: $vgpr116_vgpr117
                                        ; implicit-def: $vgpr108_vgpr109
                                        ; implicit-def: $vgpr104_vgpr105
                                        ; implicit-def: $vgpr96_vgpr97
                                        ; implicit-def: $vgpr76_vgpr77
                                        ; implicit-def: $vgpr68_vgpr69
                                        ; implicit-def: $vgpr164_vgpr165
                                        ; implicit-def: $vgpr160_vgpr161
                                        ; implicit-def: $vgpr148_vgpr149
                                        ; implicit-def: $vgpr152_vgpr153
                                        ; implicit-def: $vgpr88_vgpr89
                                        ; implicit-def: $vgpr128_vgpr129
                                        ; implicit-def: $vgpr60_vgpr61
                                        ; implicit-def: $vgpr120_vgpr121
                                        ; implicit-def: $vgpr180_vgpr181
                                        ; implicit-def: $vgpr184_vgpr185
                                        ; implicit-def: $vgpr176_vgpr177
                                        ; implicit-def: $vgpr136_vgpr137
                                        ; implicit-def: $vgpr80_vgpr81
                                        ; implicit-def: $vgpr112_vgpr113
                                        ; implicit-def: $vgpr216_vgpr217
                                        ; implicit-def: $vgpr208_vgpr209
                                        ; implicit-def: $vgpr200_vgpr201
                                        ; implicit-def: $vgpr204_vgpr205
                                        ; implicit-def: $vgpr92_vgpr93
                                        ; implicit-def: $vgpr132_vgpr133
                                        ; implicit-def: $vgpr64_vgpr65
                                        ; implicit-def: $vgpr232_vgpr233
                                        ; implicit-def: $vgpr228_vgpr229
                                        ; implicit-def: $vgpr224_vgpr225
                                        ; implicit-def: $vgpr220_vgpr221
                                        ; implicit-def: $vgpr144_vgpr145
                                        ; implicit-def: $vgpr212_vgpr213
                                        ; implicit-def: $vgpr72_vgpr73
	s_waitcnt lgkmcnt(0)
	v_mul_lo_u32 v3, s6, v11
	v_mul_lo_u32 v5, s7, v10
	v_mad_u64_u32 v[1:2], s[0:1], s6, v10, v[1:2]
	s_mov_b32 s0, 0xf0f0f10
	v_mul_hi_u32 v6, v0, s0
	v_add3_u32 v2, v5, v2, v3
	v_lshlrev_b64 v[1:2], 4, v[1:2]
	v_cmp_gt_u64_e32 vcc, s[10:11], v[10:11]
	v_mul_u32_u24_e32 v3, 17, v6
	buffer_store_dword v1, off, s[60:63], 0 offset:4 ; 4-byte Folded Spill
	s_nop 0
	buffer_store_dword v2, off, s[60:63], 0 offset:8 ; 4-byte Folded Spill
	v_sub_u32_e32 v234, v0, v3
                                        ; implicit-def: $vgpr2_vgpr3
	s_and_saveexec_b64 s[4:5], vcc
	s_cbranch_execz .LBB0_10
; %bb.9:
	buffer_load_dword v2, off, s[60:63], 0 offset:4 ; 4-byte Folded Reload
	buffer_load_dword v3, off, s[60:63], 0 offset:8 ; 4-byte Folded Reload
	v_mov_b32_e32 v235, 0
	v_mov_b32_e32 v0, s3
	s_waitcnt vmcnt(1)
	v_add_co_u32_e64 v2, s[0:1], s2, v2
	s_waitcnt vmcnt(0)
	v_addc_co_u32_e64 v3, s[0:1], v0, v3, s[0:1]
	v_lshlrev_b64 v[0:1], 4, v[234:235]
	v_add_co_u32_e64 v5, s[0:1], v2, v0
	v_addc_co_u32_e64 v6, s[0:1], v3, v1, s[0:1]
	s_movk_i32 s0, 0x1000
	v_add_co_u32_e64 v7, s[0:1], s0, v5
	v_addc_co_u32_e64 v8, s[0:1], 0, v6, s[0:1]
	s_movk_i32 s0, 0x2000
	v_or_b32_e32 v0, 0x220, v234
	v_mov_b32_e32 v1, v235
	v_add_co_u32_e64 v9, s[0:1], s0, v5
	v_lshlrev_b64 v[0:1], 4, v[0:1]
	v_addc_co_u32_e64 v10, s[0:1], 0, v6, s[0:1]
	v_add_co_u32_e64 v11, s[0:1], v2, v0
	v_addc_co_u32_e64 v12, s[0:1], v3, v1, s[0:1]
	global_load_dwordx4 v[70:73], v[5:6], off
	global_load_dwordx4 v[62:65], v[5:6], off offset:272
	global_load_dwordx4 v[142:145], v[5:6], off offset:2720
	;; [unrolled: 1-line block ×5, first 2 shown]
	global_load_dwordx4 v[118:121], v[11:12], off
	global_load_dwordx4 v[110:113], v[5:6], off offset:544
	global_load_dwordx4 v[58:61], v[5:6], off offset:816
	;; [unrolled: 1-line block ×14, first 2 shown]
                                        ; kill: killed $vgpr11 killed $vgpr12
                                        ; kill: killed $vgpr5 killed $vgpr6
	global_load_dwordx4 v[206:209], v[7:8], off offset:2976
	global_load_dwordx4 v[178:181], v[7:8], off offset:3248
	;; [unrolled: 1-line block ×14, first 2 shown]
.LBB0_10:
	s_or_b64 exec, exec, s[4:5]
	s_waitcnt vmcnt(3)
	v_add_f64 v[5:6], v[230:231], v[210:211]
	v_add_f64 v[7:8], v[226:227], v[142:143]
	v_add_f64 v[11:12], v[144:145], -v[228:229]
	v_add_f64 v[13:14], v[222:223], v[218:219]
	v_add_f64 v[15:16], v[224:225], -v[220:221]
	s_mov_b32 s0, 0xaaaaaaab
	v_mul_hi_u32 v19, v4, s0
	v_add_f64 v[9:10], v[212:213], -v[232:233]
	s_mov_b32 s4, 0x37e14327
	v_add_f64 v[17:18], v[7:8], v[5:6]
	v_lshrrev_b32_e32 v27, 1, v19
	v_add_f64 v[21:22], v[5:6], -v[13:14]
	v_add_f64 v[19:20], v[15:16], v[11:12]
	s_mov_b32 s6, 0x36b3c0b5
	s_mov_b32 s5, 0x3fe948f6
	;; [unrolled: 1-line block ×3, first 2 shown]
	v_add_f64 v[5:6], v[7:8], -v[5:6]
	v_add_f64 v[17:18], v[13:14], v[17:18]
	v_add_f64 v[13:14], v[13:14], -v[7:8]
	v_add_f64 v[7:8], v[15:16], -v[11:12]
	;; [unrolled: 1-line block ×4, first 2 shown]
	v_add_f64 v[9:10], v[19:20], v[9:10]
	v_mul_f64 v[19:20], v[21:22], s[4:5]
	s_mov_b32 s12, 0xe976ee23
	v_add_f64 v[21:22], v[70:71], v[17:18]
	v_mul_f64 v[23:24], v[13:14], s[6:7]
	s_mov_b32 s10, 0x429ad128
	s_mov_b32 s13, 0xbfe11646
	;; [unrolled: 1-line block ×5, first 2 shown]
	v_mul_f64 v[7:8], v[7:8], s[12:13]
	v_mul_f64 v[25:26], v[11:12], s[10:11]
	s_mov_b32 s15, 0xbff2aaaa
	s_mov_b32 s17, 0x3fe77f67
	;; [unrolled: 1-line block ×4, first 2 shown]
	v_fma_f64 v[17:18], v[17:18], s[14:15], v[21:22]
	v_fma_f64 v[13:14], v[13:14], s[6:7], v[19:20]
	v_fma_f64 v[23:24], v[5:6], s[16:17], -v[23:24]
	v_fma_f64 v[5:6], v[5:6], s[18:19], -v[19:20]
	s_mov_b32 s20, 0xb247c609
	s_mov_b32 s21, 0x3fd5d0dc
	;; [unrolled: 1-line block ×4, first 2 shown]
	v_fma_f64 v[19:20], v[15:16], s[20:21], v[7:8]
	v_fma_f64 v[7:8], v[11:12], s[10:11], -v[7:8]
	v_fma_f64 v[11:12], v[15:16], s[24:25], -v[25:26]
	v_add_f64 v[13:14], v[13:14], v[17:18]
	v_add_f64 v[15:16], v[23:24], v[17:18]
	;; [unrolled: 1-line block ×3, first 2 shown]
	s_waitcnt vmcnt(2)
	v_add_f64 v[17:18], v[214:215], v[130:131]
	v_add_f64 v[23:24], v[206:207], v[90:91]
	s_mov_b32 s22, 0x37c3f68c
	s_mov_b32 s23, 0x3fdc38aa
	v_fma_f64 v[19:20], v[9:10], s[22:23], v[19:20]
	v_fma_f64 v[11:12], v[9:10], s[22:23], v[11:12]
	;; [unrolled: 1-line block ×3, first 2 shown]
	v_lshl_add_u32 v9, v27, 1, v27
	v_sub_u32_e32 v4, v4, v9
	v_add_f64 v[9:10], v[198:199], v[202:203]
	v_add_f64 v[25:26], v[23:24], v[17:18]
	v_add_f64 v[33:34], v[92:93], -v[208:209]
	v_add_f64 v[35:36], v[200:201], -v[204:205]
	v_mul_u32_u24_e32 v166, 0x253, v4
	v_add_f64 v[31:32], v[15:16], -v[7:8]
	v_add_f64 v[7:8], v[7:8], v[15:16]
	v_add_f64 v[15:16], v[132:133], -v[216:217]
	v_add_f64 v[37:38], v[17:18], -v[9:10]
	v_add_f64 v[25:26], v[9:10], v[25:26]
	v_add_f64 v[9:10], v[9:10], -v[23:24]
	v_add_f64 v[27:28], v[19:20], v[13:14]
	v_add_f64 v[29:30], v[11:12], v[5:6]
	v_add_f64 v[4:5], v[5:6], -v[11:12]
	v_add_f64 v[11:12], v[13:14], -v[19:20]
	v_add_f64 v[13:14], v[35:36], v[33:34]
	v_add_f64 v[19:20], v[35:36], -v[33:34]
	v_add_f64 v[33:34], v[33:34], -v[15:16]
	v_add_f64 v[39:40], v[62:63], v[25:26]
	v_mul_f64 v[37:38], v[37:38], s[4:5]
	v_add_f64 v[17:18], v[23:24], -v[17:18]
	v_add_f64 v[23:24], v[15:16], -v[35:36]
	v_mul_f64 v[35:36], v[9:10], s[6:7]
	v_add_f64 v[13:14], v[13:14], v[15:16]
	v_mul_f64 v[15:16], v[19:20], s[12:13]
	v_mul_f64 v[19:20], v[33:34], s[10:11]
	v_fma_f64 v[25:26], v[25:26], s[14:15], v[39:40]
	v_fma_f64 v[9:10], v[9:10], s[6:7], v[37:38]
	v_add_f64 v[41:42], v[118:119], v[78:79]
	v_add_f64 v[43:44], v[178:179], v[134:135]
	v_fma_f64 v[35:36], v[17:18], s[16:17], -v[35:36]
	v_fma_f64 v[17:18], v[17:18], s[18:19], -v[37:38]
	v_fma_f64 v[37:38], v[23:24], s[20:21], v[15:16]
	v_fma_f64 v[15:16], v[33:34], s[10:11], -v[15:16]
	v_fma_f64 v[19:20], v[23:24], s[24:25], -v[19:20]
	v_add_f64 v[9:10], v[9:10], v[25:26]
	v_add_f64 v[23:24], v[182:183], v[174:175]
	v_add_f64 v[33:34], v[43:44], v[41:42]
	v_add_f64 v[35:36], v[35:36], v[25:26]
	v_add_f64 v[17:18], v[17:18], v[25:26]
	v_add_f64 v[25:26], v[136:137], -v[180:181]
	v_add_f64 v[45:46], v[184:185], -v[176:177]
	v_add_f64 v[47:48], v[80:81], -v[120:121]
	v_fma_f64 v[37:38], v[13:14], s[22:23], v[37:38]
	v_fma_f64 v[15:16], v[13:14], s[22:23], v[15:16]
	v_add_f64 v[33:34], v[23:24], v[33:34]
	v_add_f64 v[49:50], v[41:42], -v[23:24]
	v_add_f64 v[23:24], v[23:24], -v[43:44]
	v_fma_f64 v[13:14], v[13:14], s[22:23], v[19:20]
	v_add_f64 v[19:20], v[45:46], -v[25:26]
	v_add_f64 v[51:52], v[25:26], -v[47:48]
	;; [unrolled: 1-line block ×3, first 2 shown]
	v_add_f64 v[25:26], v[45:46], v[25:26]
	v_add_f64 v[43:44], v[110:111], v[33:34]
	v_mul_f64 v[49:50], v[49:50], s[4:5]
	v_mul_f64 v[53:54], v[23:24], s[6:7]
	v_add_f64 v[45:46], v[47:48], -v[45:46]
	v_mul_f64 v[19:20], v[19:20], s[12:13]
	v_mul_f64 v[55:56], v[51:52], s[10:11]
	v_add_f64 v[62:63], v[37:38], v[9:10]
	v_add_f64 v[25:26], v[25:26], v[47:48]
	v_fma_f64 v[33:34], v[33:34], s[14:15], v[43:44]
	v_fma_f64 v[23:24], v[23:24], s[6:7], v[49:50]
	v_fma_f64 v[47:48], v[41:42], s[16:17], -v[53:54]
	v_fma_f64 v[41:42], v[41:42], s[18:19], -v[49:50]
	v_fma_f64 v[49:50], v[45:46], s[20:21], v[19:20]
	v_fma_f64 v[19:20], v[51:52], s[10:11], -v[19:20]
	v_fma_f64 v[45:46], v[45:46], s[24:25], -v[55:56]
	v_add_f64 v[51:52], v[158:159], v[86:87]
	v_add_f64 v[55:56], v[35:36], -v[15:16]
	v_add_f64 v[23:24], v[23:24], v[33:34]
	v_add_f64 v[47:48], v[47:48], v[33:34]
	;; [unrolled: 1-line block ×3, first 2 shown]
	v_fma_f64 v[41:42], v[25:26], s[22:23], v[49:50]
	s_waitcnt vmcnt(1)
	v_add_f64 v[49:50], v[162:163], v[126:127]
	v_fma_f64 v[19:20], v[25:26], s[22:23], v[19:20]
	v_fma_f64 v[45:46], v[25:26], s[22:23], v[45:46]
	v_add_f64 v[15:16], v[15:16], v[35:36]
	v_add_f64 v[9:10], v[9:10], -v[37:38]
	v_add_f64 v[35:36], v[146:147], v[150:151]
	v_add_f64 v[82:83], v[88:89], -v[160:161]
	v_add_f64 v[84:85], v[148:149], -v[152:153]
	v_add_f64 v[37:38], v[51:52], v[49:50]
	v_add_f64 v[70:71], v[47:48], -v[19:20]
	v_add_f64 v[19:20], v[19:20], v[47:48]
	;; [unrolled: 2-line block ×4, first 2 shown]
	v_add_f64 v[25:26], v[45:46], v[33:34]
	v_add_f64 v[33:34], v[33:34], -v[45:46]
	v_add_f64 v[23:24], v[23:24], -v[41:42]
	v_add_f64 v[37:38], v[35:36], v[37:38]
	v_add_f64 v[41:42], v[49:50], -v[35:36]
	v_add_f64 v[35:36], v[35:36], -v[51:52]
	;; [unrolled: 3-line block ×3, first 2 shown]
	v_add_f64 v[49:50], v[51:52], -v[49:50]
	v_add_f64 v[51:52], v[47:48], -v[84:85]
	v_add_f64 v[57:58], v[58:59], v[37:38]
	v_mul_f64 v[41:42], v[41:42], s[4:5]
	v_mul_f64 v[84:85], v[35:36], s[6:7]
	v_add_f64 v[45:46], v[45:46], v[47:48]
	v_mul_f64 v[47:48], v[98:99], s[12:13]
	v_mul_f64 v[98:99], v[82:83], s[10:11]
	s_waitcnt vmcnt(0)
	v_add_f64 v[100:101], v[114:115], v[66:67]
	v_add_f64 v[110:111], v[106:107], v[74:75]
	v_fma_f64 v[37:38], v[37:38], s[14:15], v[57:58]
	v_fma_f64 v[35:36], v[35:36], s[6:7], v[41:42]
	v_fma_f64 v[84:85], v[49:50], s[16:17], -v[84:85]
	v_fma_f64 v[41:42], v[49:50], s[18:19], -v[41:42]
	v_fma_f64 v[49:50], v[51:52], s[20:21], v[47:48]
	v_fma_f64 v[47:48], v[82:83], s[10:11], -v[47:48]
	v_add_f64 v[82:83], v[102:103], v[94:95]
	v_add_f64 v[122:123], v[110:111], v[100:101]
	v_fma_f64 v[51:52], v[51:52], s[24:25], -v[98:99]
	v_add_f64 v[98:99], v[76:77], -v[108:109]
	v_add_f64 v[124:125], v[104:105], -v[96:97]
	;; [unrolled: 1-line block ×3, first 2 shown]
	v_add_f64 v[35:36], v[35:36], v[37:38]
	v_add_f64 v[84:85], v[84:85], v[37:38]
	;; [unrolled: 1-line block ×4, first 2 shown]
	v_add_f64 v[122:123], v[100:101], -v[82:83]
	v_add_f64 v[82:83], v[82:83], -v[110:111]
	;; [unrolled: 1-line block ×5, first 2 shown]
	v_add_f64 v[98:99], v[124:125], v[98:99]
	v_add_f64 v[124:125], v[138:139], -v[124:125]
	v_add_f64 v[110:111], v[0:1], v[41:42]
	v_mul_f64 v[0:1], v[122:123], s[4:5]
	v_mul_f64 v[122:123], v[82:83], s[6:7]
	;; [unrolled: 1-line block ×4, first 2 shown]
	v_fma_f64 v[49:50], v[45:46], s[22:23], v[49:50]
	v_add_f64 v[98:99], v[98:99], v[138:139]
	v_fma_f64 v[47:48], v[45:46], s[22:23], v[47:48]
	v_fma_f64 v[41:42], v[41:42], s[14:15], v[110:111]
	;; [unrolled: 1-line block ×3, first 2 shown]
	v_fma_f64 v[122:123], v[100:101], s[16:17], -v[122:123]
	v_fma_f64 v[0:1], v[100:101], s[18:19], -v[0:1]
	v_fma_f64 v[100:101], v[124:125], s[20:21], v[140:141]
	v_fma_f64 v[124:125], v[124:125], s[24:25], -v[156:157]
	v_fma_f64 v[138:139], v[154:155], s[10:11], -v[140:141]
	v_fma_f64 v[45:46], v[45:46], s[22:23], v[51:52]
	v_add_f64 v[51:52], v[49:50], v[35:36]
	v_add_f64 v[82:83], v[82:83], v[41:42]
	;; [unrolled: 1-line block ×4, first 2 shown]
	v_fma_f64 v[41:42], v[98:99], s[22:23], v[100:101]
	v_fma_f64 v[100:101], v[98:99], s[22:23], v[124:125]
	;; [unrolled: 1-line block ×3, first 2 shown]
	v_add_f64 v[124:125], v[45:46], v[37:38]
	v_add_f64 v[138:139], v[84:85], -v[47:48]
	v_add_f64 v[47:48], v[47:48], v[84:85]
	v_add_f64 v[37:38], v[37:38], -v[45:46]
	v_add_f64 v[35:36], v[35:36], -v[49:50]
	v_add_f64 v[45:46], v[41:42], v[82:83]
	v_add_f64 v[49:50], v[100:101], v[0:1]
	v_add_f64 v[84:85], v[122:123], -v[98:99]
	v_add_f64 v[98:99], v[98:99], v[122:123]
	v_lshlrev_b32_e32 v6, 3, v166
	v_add_f64 v[100:101], v[0:1], -v[100:101]
	v_add_f64 v[238:239], v[82:83], -v[41:42]
	v_add_u32_e32 v235, 0, v6
	v_mad_u32_u24 v0, v234, 56, v235
	ds_write2_b64 v0, v[21:22], v[27:28] offset1:1
	ds_write2_b64 v0, v[29:30], v[31:32] offset0:2 offset1:3
	ds_write2_b64 v0, v[7:8], v[4:5] offset0:4 offset1:5
	;; [unrolled: 1-line block ×9, first 2 shown]
	v_add_u32_e32 v4, 0xb38, v0
	ds_write2_b64 v4, v[124:125], v[138:139] offset1:1
	v_add_u32_e32 v4, 0xb48, v0
	v_add_u32_e32 v1, 0xb28, v0
	ds_write2_b64 v4, v[47:48], v[37:38] offset1:1
	v_add_u32_e32 v4, 0x400, v0
	ds_write2_b64 v1, v[57:58], v[51:52] offset1:1
	ds_write2_b64 v4, v[23:24], v[35:36] offset0:116 offset1:235
	ds_write_b64 v0, v[110:111] offset:3808
	v_add_u32_e32 v4, 0xee8, v0
	ds_write2_b64 v4, v[45:46], v[49:50] offset1:1
	v_add_u32_e32 v4, 0xef8, v0
	ds_write2_b64 v4, v[84:85], v[98:99] offset1:1
	;; [unrolled: 2-line block ×3, first 2 shown]
	v_lshlrev_b32_e32 v4, 3, v234
	v_add3_u32 v237, 0, v4, v6
	s_waitcnt lgkmcnt(0)
	; wave barrier
	s_waitcnt lgkmcnt(0)
	buffer_store_dword v6, off, s[60:63], 0 offset:12 ; 4-byte Folded Spill
	v_add_u32_e32 v62, 0x800, v237
	v_add_u32_e32 v8, v235, v4
	ds_read2_b64 v[4:7], v237 offset0:17 offset1:35
	ds_read2_b64 v[194:197], v237 offset0:52 offset1:70
	;; [unrolled: 1-line block ×14, first 2 shown]
	v_add_u32_e32 v63, 0xc00, v237
	v_add_u32_e32 v70, 0x1000, v237
	buffer_store_dword v8, off, s[60:63], 0 ; 4-byte Folded Spill
	ds_read2_b64 v[44:47], v63 offset0:123 offset1:141
	ds_read2_b64 v[32:35], v70 offset0:30 offset1:48
	ds_read_b64 v[240:241], v8
	ds_read_b64 v[244:245], v237 offset:4616
	v_add_u32_e32 v111, 0x3b8, v0
	v_add_u32_e32 v110, 0x770, v0
	;; [unrolled: 1-line block ×3, first 2 shown]
	v_cmp_eq_u32_e64 s[0:1], 0, v234
                                        ; implicit-def: $vgpr242_vgpr243
                                        ; implicit-def: $vgpr10_vgpr11
                                        ; implicit-def: $vgpr14_vgpr15
                                        ; implicit-def: $vgpr18_vgpr19
                                        ; implicit-def: $vgpr22_vgpr23
                                        ; implicit-def: $vgpr26_vgpr27
                                        ; implicit-def: $vgpr30_vgpr31
                                        ; implicit-def: $vgpr38_vgpr39
                                        ; implicit-def: $vgpr42_vgpr43
	s_and_saveexec_b64 s[26:27], s[0:1]
	s_cbranch_execz .LBB0_12
; %bb.11:
	v_add_u32_e32 v8, 0x400, v235
	ds_read2_b64 v[40:43], v235 offset0:34 offset1:69
	ds_read2_b64 v[36:39], v235 offset0:104 offset1:139
	ds_read2_b64 v[28:31], v235 offset0:174 offset1:209
	ds_read2_b64 v[24:27], v8 offset0:116 offset1:151
	v_add_u32_e32 v8, 0x800, v235
	ds_read2_b64 v[20:23], v8 offset0:58 offset1:93
	ds_read2_b64 v[16:19], v8 offset0:128 offset1:163
	;; [unrolled: 1-line block ×3, first 2 shown]
	v_add_u32_e32 v8, 0x1000, v235
	ds_read2_b64 v[8:11], v8 offset0:12 offset1:47
	ds_read_b64 v[242:243], v235 offset:4752
	s_waitcnt lgkmcnt(8)
	v_mov_b32_e32 v239, v41
	v_mov_b32_e32 v238, v40
.LBB0_12:
	s_or_b64 exec, exec, s[26:27]
	v_add_f64 v[40:41], v[232:233], v[212:213]
	v_add_f64 v[144:145], v[228:229], v[144:145]
	v_add_f64 v[142:143], v[142:143], -v[226:227]
	v_add_f64 v[212:213], v[224:225], v[220:221]
	v_add_f64 v[218:219], v[222:223], -v[218:219]
	v_add_f64 v[210:211], v[210:211], -v[230:231]
	v_add_f64 v[132:133], v[216:217], v[132:133]
	v_add_f64 v[92:93], v[208:209], v[92:93]
	v_add_f64 v[130:131], v[130:131], -v[214:215]
	v_add_f64 v[220:221], v[144:145], v[40:41]
	v_add_f64 v[90:91], v[90:91], -v[206:207]
	v_add_f64 v[222:223], v[40:41], -v[212:213]
	;; [unrolled: 1-line block ×4, first 2 shown]
	v_add_f64 v[142:143], v[218:219], v[142:143]
	v_add_f64 v[218:219], v[210:211], -v[218:219]
	v_add_f64 v[40:41], v[144:145], -v[40:41]
	v_add_f64 v[220:221], v[212:213], v[220:221]
	v_add_f64 v[212:213], v[212:213], -v[144:145]
	v_mul_f64 v[222:223], v[222:223], s[4:5]
	v_mul_f64 v[224:225], v[224:225], s[12:13]
	;; [unrolled: 1-line block ×3, first 2 shown]
	v_add_f64 v[142:143], v[142:143], v[210:211]
	v_add_f64 v[198:199], v[198:199], -v[202:203]
	v_add_f64 v[80:81], v[120:121], v[80:81]
	v_add_f64 v[72:73], v[72:73], v[220:221]
	v_mul_f64 v[144:145], v[212:213], s[6:7]
	v_fma_f64 v[210:211], v[212:213], s[6:7], v[222:223]
	v_fma_f64 v[212:213], v[218:219], s[20:21], v[224:225]
	v_fma_f64 v[216:217], v[216:217], s[10:11], -v[224:225]
	v_fma_f64 v[208:209], v[218:219], s[24:25], -v[208:209]
	v_add_f64 v[120:121], v[180:181], v[136:137]
	v_add_f64 v[176:177], v[184:185], v[176:177]
	v_fma_f64 v[218:219], v[220:221], s[14:15], v[72:73]
	v_fma_f64 v[220:221], v[40:41], s[18:19], -v[222:223]
	v_fma_f64 v[40:41], v[40:41], s[16:17], -v[144:145]
	v_add_f64 v[144:145], v[200:201], v[204:205]
	v_fma_f64 v[204:205], v[142:143], s[22:23], v[212:213]
	v_fma_f64 v[212:213], v[142:143], s[22:23], v[216:217]
	;; [unrolled: 1-line block ×3, first 2 shown]
	v_add_f64 v[200:201], v[92:93], v[132:133]
	v_add_f64 v[208:209], v[210:211], v[218:219]
	;; [unrolled: 1-line block ×4, first 2 shown]
	v_add_f64 v[202:203], v[132:133], -v[144:145]
	v_add_f64 v[134:135], v[134:135], -v[178:179]
	;; [unrolled: 1-line block ×4, first 2 shown]
	v_add_f64 v[200:201], v[144:145], v[200:201]
	v_add_f64 v[206:207], v[208:209], -v[204:205]
	v_add_f64 v[214:215], v[210:211], -v[142:143]
	v_add_f64 v[142:143], v[142:143], v[210:211]
	v_add_f64 v[204:205], v[204:205], v[208:209]
	;; [unrolled: 1-line block ×3, first 2 shown]
	v_add_f64 v[210:211], v[198:199], -v[90:91]
	v_add_f64 v[90:91], v[90:91], -v[130:131]
	;; [unrolled: 1-line block ×5, first 2 shown]
	v_add_f64 v[64:65], v[64:65], v[200:201]
	v_mul_f64 v[202:203], v[202:203], s[4:5]
	v_add_f64 v[130:131], v[208:209], v[130:131]
	v_mul_f64 v[208:209], v[210:211], s[12:13]
	v_mul_f64 v[210:211], v[90:91], s[10:11]
	;; [unrolled: 1-line block ×3, first 2 shown]
	v_add_f64 v[178:179], v[176:177], v[184:185]
	v_add_f64 v[182:183], v[134:135], -v[78:79]
	v_fma_f64 v[200:201], v[200:201], s[14:15], v[64:65]
	v_fma_f64 v[144:145], v[144:145], s[6:7], v[202:203]
	v_add_f64 v[128:129], v[164:165], v[128:129]
	v_fma_f64 v[180:181], v[132:133], s[20:21], v[208:209]
	v_fma_f64 v[90:91], v[90:91], s[10:11], -v[208:209]
	v_fma_f64 v[132:133], v[132:133], s[24:25], -v[210:211]
	;; [unrolled: 1-line block ×3, first 2 shown]
	v_add_f64 v[112:113], v[112:113], v[178:179]
	v_mul_f64 v[184:185], v[182:183], s[10:11]
	v_add_f64 v[144:145], v[144:145], v[200:201]
	v_add_f64 v[88:89], v[160:161], v[88:89]
	v_fma_f64 v[118:119], v[130:131], s[22:23], v[180:181]
	v_fma_f64 v[90:91], v[130:131], s[22:23], v[90:91]
	v_add_f64 v[180:181], v[80:81], -v[176:177]
	v_add_f64 v[176:177], v[176:177], -v[120:121]
	v_fma_f64 v[130:131], v[130:131], s[22:23], v[132:133]
	v_add_f64 v[132:133], v[174:175], -v[134:135]
	v_add_f64 v[80:81], v[120:121], -v[80:81]
	v_add_f64 v[120:121], v[174:175], v[134:135]
	v_add_f64 v[174:175], v[78:79], -v[174:175]
	v_add_f64 v[136:137], v[136:137], v[200:201]
	v_mul_f64 v[134:135], v[180:181], s[4:5]
	v_mul_f64 v[180:181], v[176:177], s[6:7]
	v_add_f64 v[198:199], v[144:145], -v[118:119]
	v_mul_f64 v[132:133], v[132:133], s[12:13]
	v_add_f64 v[118:119], v[118:119], v[144:145]
	v_add_f64 v[78:79], v[120:121], v[78:79]
	v_fma_f64 v[120:121], v[178:179], s[14:15], v[112:113]
	v_add_f64 v[144:145], v[88:89], v[128:129]
	v_fma_f64 v[176:177], v[176:177], s[6:7], v[134:135]
	v_fma_f64 v[178:179], v[80:81], s[16:17], -v[180:181]
	v_fma_f64 v[80:81], v[80:81], s[18:19], -v[134:135]
	v_fma_f64 v[134:135], v[174:175], s[20:21], v[132:133]
	v_fma_f64 v[174:175], v[174:175], s[24:25], -v[184:185]
	v_add_f64 v[184:185], v[90:91], v[136:137]
	v_fma_f64 v[132:133], v[182:183], s[10:11], -v[132:133]
	v_add_f64 v[90:91], v[136:137], -v[90:91]
	v_add_f64 v[176:177], v[176:177], v[120:121]
	v_add_f64 v[178:179], v[178:179], v[120:121]
	;; [unrolled: 1-line block ×3, first 2 shown]
	v_fma_f64 v[120:121], v[78:79], s[22:23], v[134:135]
	v_fma_f64 v[134:135], v[78:79], s[22:23], v[174:175]
	v_add_f64 v[136:137], v[148:149], v[152:153]
	v_fma_f64 v[78:79], v[78:79], s[22:23], v[132:133]
	v_add_f64 v[86:87], v[86:87], -v[158:159]
	v_add_f64 v[146:147], v[146:147], -v[150:151]
	;; [unrolled: 1-line block ×3, first 2 shown]
	v_add_f64 v[68:69], v[116:117], v[68:69]
	v_add_f64 v[76:77], v[108:109], v[76:77]
	v_add_f64 v[132:133], v[80:81], -v[134:135]
	v_add_f64 v[134:135], v[134:135], v[80:81]
	v_add_f64 v[80:81], v[136:137], v[144:145]
	v_add_f64 v[144:145], v[128:129], -v[136:137]
	v_add_f64 v[136:137], v[136:137], -v[88:89]
	v_add_f64 v[150:151], v[146:147], v[86:87]
	v_add_f64 v[152:153], v[146:147], -v[86:87]
	v_add_f64 v[88:89], v[88:89], -v[128:129]
	;; [unrolled: 1-line block ×4, first 2 shown]
	v_add_f64 v[60:61], v[60:61], v[80:81]
	v_mul_f64 v[144:145], v[144:145], s[4:5]
	v_mul_f64 v[146:147], v[136:137], s[6:7]
	v_add_f64 v[126:127], v[150:151], v[126:127]
	v_mul_f64 v[150:151], v[152:153], s[12:13]
	v_add_f64 v[96:97], v[104:105], v[96:97]
	v_add_f64 v[104:105], v[76:77], v[68:69]
	v_add_f64 v[74:75], v[74:75], -v[106:107]
	v_fma_f64 v[80:81], v[80:81], s[14:15], v[60:61]
	v_fma_f64 v[108:109], v[136:137], s[6:7], v[144:145]
	v_fma_f64 v[116:117], v[88:89], s[16:17], -v[146:147]
	v_fma_f64 v[88:89], v[88:89], s[18:19], -v[144:145]
	v_add_f64 v[94:95], v[102:103], -v[94:95]
	v_add_f64 v[66:67], v[66:67], -v[114:115]
	v_fma_f64 v[136:137], v[128:129], s[20:21], v[150:151]
	v_mul_f64 v[152:153], v[86:87], s[10:11]
	v_fma_f64 v[92:93], v[92:93], s[18:19], -v[202:203]
	v_add_f64 v[108:109], v[108:109], v[80:81]
	v_add_f64 v[102:103], v[116:117], v[80:81]
	;; [unrolled: 1-line block ×4, first 2 shown]
	v_add_f64 v[104:105], v[68:69], -v[96:97]
	v_add_f64 v[96:97], v[96:97], -v[76:77]
	;; [unrolled: 1-line block ×4, first 2 shown]
	v_fma_f64 v[106:107], v[126:127], s[22:23], v[136:137]
	v_add_f64 v[68:69], v[76:77], -v[68:69]
	v_add_f64 v[74:75], v[94:95], v[74:75]
	v_add_f64 v[2:3], v[2:3], v[88:89]
	v_mul_f64 v[76:77], v[104:105], s[4:5]
	v_mul_f64 v[104:105], v[96:97], s[6:7]
	v_add_f64 v[94:95], v[66:67], -v[94:95]
	v_mul_f64 v[114:115], v[114:115], s[12:13]
	v_mul_f64 v[136:137], v[116:117], s[10:11]
	v_fma_f64 v[86:87], v[86:87], s[10:11], -v[150:151]
	v_add_f64 v[66:67], v[74:75], v[66:67]
	v_fma_f64 v[74:75], v[88:89], s[14:15], v[2:3]
	v_fma_f64 v[88:89], v[96:97], s[6:7], v[76:77]
	v_fma_f64 v[96:97], v[68:69], s[16:17], -v[104:105]
	v_fma_f64 v[68:69], v[68:69], s[18:19], -v[76:77]
	v_fma_f64 v[76:77], v[94:95], s[20:21], v[114:115]
	v_fma_f64 v[94:95], v[94:95], s[24:25], -v[136:137]
	v_fma_f64 v[104:105], v[116:117], s[10:11], -v[114:115]
	;; [unrolled: 1-line block ×3, first 2 shown]
	v_add_f64 v[40:41], v[40:41], v[218:219]
	v_add_f64 v[92:93], v[92:93], v[200:201]
	;; [unrolled: 1-line block ×5, first 2 shown]
	v_fma_f64 v[74:75], v[66:67], s[22:23], v[76:77]
	v_fma_f64 v[76:77], v[66:67], s[22:23], v[94:95]
	;; [unrolled: 1-line block ×5, first 2 shown]
	v_add_f64 v[216:217], v[212:213], v[40:41]
	v_add_f64 v[40:41], v[40:41], -v[212:213]
	v_add_f64 v[180:181], v[92:93], -v[130:131]
	v_add_f64 v[92:93], v[130:131], v[92:93]
	v_add_f64 v[130:131], v[176:177], -v[120:121]
	v_add_f64 v[148:149], v[78:79], v[178:179]
	v_add_f64 v[120:121], v[120:121], v[176:177]
	v_add_f64 v[116:117], v[108:109], -v[106:107]
	v_add_f64 v[106:107], v[106:107], v[108:109]
	v_add_f64 v[108:109], v[88:89], -v[74:75]
	;; [unrolled: 2-line block ×3, first 2 shown]
	v_add_f64 v[94:95], v[80:81], -v[114:115]
	v_add_f64 v[104:105], v[86:87], v[102:103]
	v_add_f64 v[86:87], v[102:103], -v[86:87]
	v_add_f64 v[102:103], v[114:115], v[80:81]
	v_add_f64 v[114:115], v[68:69], -v[76:77]
	v_add_f64 v[66:67], v[96:97], -v[66:67]
	v_add_f64 v[68:69], v[76:77], v[68:69]
	v_add_f64 v[232:233], v[74:75], v[88:89]
	s_waitcnt lgkmcnt(0)
	; wave barrier
	s_waitcnt lgkmcnt(0)
	ds_write2_b64 v0, v[72:73], v[206:207] offset1:1
	ds_write2_b64 v0, v[214:215], v[216:217] offset0:2 offset1:3
	ds_write2_b64 v0, v[40:41], v[142:143] offset0:4 offset1:5
	ds_write_b64 v0, v[204:205] offset:48
	ds_write2_b64 v111, v[64:65], v[198:199] offset1:1
	ds_write2_b64 v111, v[180:181], v[184:185] offset0:2 offset1:3
	ds_write2_b64 v111, v[90:91], v[92:93] offset0:4 offset1:5
	ds_write_b64 v111, v[118:119] offset:48
	;; [unrolled: 4-line block ×4, first 2 shown]
	ds_write_b64 v71, v[2:3]
	ds_write2_b64 v71, v[108:109], v[114:115] offset0:1 offset1:2
	ds_write2_b64 v71, v[126:127], v[66:67] offset0:3 offset1:4
	;; [unrolled: 1-line block ×3, first 2 shown]
	s_waitcnt lgkmcnt(0)
	; wave barrier
	s_waitcnt lgkmcnt(0)
	ds_read2_b64 v[0:3], v237 offset0:17 offset1:35
	ds_read2_b64 v[182:185], v237 offset0:52 offset1:70
	;; [unrolled: 1-line block ×16, first 2 shown]
	buffer_load_dword v40, off, s[60:63], 0 ; 4-byte Folded Reload
                                        ; implicit-def: $vgpr246_vgpr247
                                        ; implicit-def: $vgpr62_vgpr63
                                        ; implicit-def: $vgpr66_vgpr67
                                        ; implicit-def: $vgpr70_vgpr71
                                        ; implicit-def: $vgpr74_vgpr75
                                        ; implicit-def: $vgpr78_vgpr79
                                        ; implicit-def: $vgpr88_vgpr89
                                        ; implicit-def: $vgpr96_vgpr97
                                        ; implicit-def: $vgpr104_vgpr105
	s_waitcnt vmcnt(0)
	ds_read_b64 v[212:213], v40
	ds_read_b64 v[248:249], v237 offset:4616
	s_and_saveexec_b64 s[4:5], s[0:1]
	s_cbranch_execz .LBB0_14
; %bb.13:
	v_add_u32_e32 v40, 0x400, v235
	ds_read2_b64 v[102:105], v235 offset0:34 offset1:69
	ds_read2_b64 v[94:97], v235 offset0:104 offset1:139
	;; [unrolled: 1-line block ×4, first 2 shown]
	v_add_u32_e32 v40, 0x800, v235
	ds_read2_b64 v[72:75], v40 offset0:58 offset1:93
	ds_read2_b64 v[68:71], v40 offset0:128 offset1:163
	;; [unrolled: 1-line block ×3, first 2 shown]
	v_add_u32_e32 v40, 0x1000, v235
	ds_read2_b64 v[60:63], v40 offset0:12 offset1:47
	ds_read_b64 v[246:247], v235 offset:4752
	s_waitcnt lgkmcnt(8)
	v_mov_b32_e32 v233, v103
	v_mov_b32_e32 v232, v102
.LBB0_14:
	s_or_b64 exec, exec, s[4:5]
	v_mov_b32_e32 v222, 37
	v_mul_lo_u16_sdwa v40, v234, v222 dst_sel:DWORD dst_unused:UNUSED_PAD src0_sel:BYTE_0 src1_sel:DWORD
	v_sub_u16_sdwa v41, v234, v40 dst_sel:DWORD dst_unused:UNUSED_PAD src0_sel:DWORD src1_sel:BYTE_1
	v_lshrrev_b16_e32 v41, 1, v41
	v_and_b32_e32 v41, 0x7f, v41
	v_add_u16_sdwa v40, v41, v40 dst_sel:DWORD dst_unused:UNUSED_PAD src0_sel:DWORD src1_sel:BYTE_1
	v_lshrrev_b16_e32 v250, 2, v40
	v_mul_lo_u16_e32 v40, 7, v250
	v_sub_u16_e32 v251, v234, v40
	v_mov_b32_e32 v102, 8
	v_lshlrev_b32_sdwa v223, v102, v251 dst_sel:DWORD dst_unused:UNUSED_PAD src0_sel:DWORD src1_sel:BYTE_0
	global_load_dwordx4 v[198:201], v223, s[8:9] offset:16
	v_add_u32_e32 v103, 17, v234
	v_mul_lo_u16_sdwa v40, v103, v222 dst_sel:DWORD dst_unused:UNUSED_PAD src0_sel:BYTE_0 src1_sel:DWORD
	v_sub_u16_sdwa v41, v103, v40 dst_sel:DWORD dst_unused:UNUSED_PAD src0_sel:DWORD src1_sel:BYTE_1
	v_lshrrev_b16_e32 v41, 1, v41
	v_and_b32_e32 v41, 0x7f, v41
	v_add_u16_sdwa v40, v41, v40 dst_sel:DWORD dst_unused:UNUSED_PAD src0_sel:DWORD src1_sel:BYTE_1
	v_lshrrev_b16_e32 v40, 2, v40
	buffer_store_dword v40, off, s[60:63], 0 offset:364 ; 4-byte Folded Spill
	v_mul_lo_u16_e32 v40, 7, v40
	v_sub_u16_e32 v40, v103, v40
	buffer_store_dword v40, off, s[60:63], 0 offset:368 ; 4-byte Folded Spill
	v_lshlrev_b32_sdwa v103, v102, v40 dst_sel:DWORD dst_unused:UNUSED_PAD src0_sel:DWORD src1_sel:BYTE_0
	global_load_dwordx4 v[202:205], v103, s[8:9]
	global_load_dwordx4 v[206:209], v223, s[8:9] offset:32
	global_load_dwordx4 v[224:227], v103, s[8:9] offset:16
	;; [unrolled: 1-line block ×4, first 2 shown]
	global_load_dwordx4 v[114:117], v223, s[8:9]
	global_load_dwordx4 v[214:217], v223, s[8:9] offset:64
	s_mov_b32 s28, 0x5d8e7cdc
	s_mov_b32 s29, 0xbfd71e95
	;; [unrolled: 1-line block ×48, first 2 shown]
	s_movk_i32 s33, 0x3b8
	s_waitcnt vmcnt(9) lgkmcnt(14)
	v_mul_f64 v[40:41], v[184:185], v[200:201]
	v_mul_f64 v[200:201], v[196:197], v[200:201]
	s_waitcnt vmcnt(6)
	v_mul_f64 v[210:211], v[182:183], v[204:205]
	v_fma_f64 v[218:219], v[196:197], v[198:199], -v[40:41]
	v_fma_f64 v[220:221], v[184:185], v[198:199], v[200:201]
	global_load_dwordx4 v[196:199], v103, s[8:9] offset:48
	v_mul_f64 v[40:41], v[194:195], v[204:205]
	s_waitcnt vmcnt(6)
	v_mul_f64 v[200:201], v[192:193], v[208:209]
	v_fma_f64 v[235:236], v[194:195], v[202:203], -v[210:211]
	v_mul_f64 v[194:195], v[180:181], v[208:209]
	global_load_dwordx4 v[208:211], v223, s[8:9] offset:80
	v_fma_f64 v[184:185], v[182:183], v[202:203], v[40:41]
	s_waitcnt vmcnt(6)
	v_mul_f64 v[202:203], v[178:179], v[226:227]
	v_fma_f64 v[40:41], v[180:181], v[206:207], v[200:201]
	s_waitcnt vmcnt(5)
	v_mul_f64 v[200:201], v[176:177], v[230:231]
	v_fma_f64 v[182:183], v[192:193], v[206:207], -v[194:195]
	global_load_dwordx4 v[192:195], v103, s[8:9] offset:64
	v_fma_f64 v[204:205], v[190:191], v[224:225], -v[202:203]
	v_mul_f64 v[190:191], v[190:191], v[226:227]
	v_fma_f64 v[180:181], v[188:189], v[228:229], -v[200:201]
	v_fma_f64 v[178:179], v[178:179], v[224:225], v[190:191]
	global_load_dwordx4 v[224:227], v223, s[8:9] offset:96
	v_mul_f64 v[190:191], v[188:189], v[230:231]
	v_fma_f64 v[80:81], v[176:177], v[228:229], v[190:191]
	s_waitcnt vmcnt(6)
	v_mul_f64 v[176:177], v[174:175], v[254:255]
	global_load_dwordx4 v[228:231], v103, s[8:9] offset:80
	v_fma_f64 v[176:177], v[186:187], v[252:253], -v[176:177]
	buffer_store_dword v176, off, s[60:63], 0 offset:380 ; 4-byte Folded Spill
	s_nop 0
	buffer_store_dword v177, off, s[60:63], 0 offset:384 ; 4-byte Folded Spill
	v_mul_f64 v[176:177], v[186:187], v[254:255]
	s_waitcnt vmcnt(7) lgkmcnt(13)
	v_mul_f64 v[186:187], v[164:165], v[216:217]
	v_fma_f64 v[176:177], v[174:175], v[252:253], v[176:177]
	global_load_dwordx4 v[252:255], v223, s[8:9] offset:112
	v_mul_f64 v[174:175], v[172:173], v[216:217]
	v_fma_f64 v[200:201], v[172:173], v[214:215], -v[186:187]
	v_fma_f64 v[190:191], v[164:165], v[214:215], v[174:175]
	global_load_dwordx4 v[172:175], v103, s[8:9] offset:96
	s_waitcnt vmcnt(8)
	v_mul_f64 v[188:189], v[162:163], v[198:199]
	s_waitcnt vmcnt(7) lgkmcnt(12)
	v_mul_f64 v[186:187], v[160:161], v[210:211]
	v_fma_f64 v[164:165], v[170:171], v[196:197], -v[188:189]
	v_mul_f64 v[170:171], v[170:171], v[198:199]
	buffer_store_dword v164, off, s[60:63], 0 offset:372 ; 4-byte Folded Spill
	s_nop 0
	buffer_store_dword v165, off, s[60:63], 0 offset:376 ; 4-byte Folded Spill
	v_fma_f64 v[214:215], v[162:163], v[196:197], v[170:171]
	v_mul_f64 v[170:171], v[168:169], v[210:211]
	global_load_dwordx4 v[196:199], v223, s[8:9] offset:128
	s_waitcnt vmcnt(9)
	v_mul_f64 v[202:203], v[158:159], v[194:195]
	v_fma_f64 v[188:189], v[168:169], v[208:209], -v[186:187]
	v_fma_f64 v[216:217], v[160:161], v[208:209], v[170:171]
	global_load_dwordx4 v[206:209], v103, s[8:9] offset:112
	v_fma_f64 v[164:165], v[166:167], v[192:193], -v[202:203]
	v_mul_f64 v[166:167], v[166:167], v[194:195]
	s_waitcnt vmcnt(9)
	v_mul_f64 v[168:169], v[156:157], v[226:227]
	v_fma_f64 v[162:163], v[158:159], v[192:193], v[166:167]
	global_load_dwordx4 v[192:195], v223, s[8:9] offset:144
	s_waitcnt lgkmcnt(11)
	v_mul_f64 v[166:167], v[152:153], v[226:227]
	s_waitcnt vmcnt(9)
	v_mul_f64 v[170:171], v[150:151], v[230:231]
	v_fma_f64 v[166:167], v[156:157], v[224:225], -v[166:167]
	v_fma_f64 v[156:157], v[152:153], v[224:225], v[168:169]
	global_load_dwordx4 v[224:227], v103, s[8:9] offset:128
	v_fma_f64 v[160:161], v[154:155], v[228:229], -v[170:171]
	v_mul_f64 v[154:155], v[154:155], v[230:231]
	v_fma_f64 v[158:159], v[150:151], v[228:229], v[154:155]
	global_load_dwordx4 v[228:231], v223, s[8:9] offset:160
	s_waitcnt vmcnt(8) lgkmcnt(10)
	v_mul_f64 v[154:155], v[148:149], v[254:255]
	v_mul_f64 v[168:169], v[140:141], v[254:255]
	v_fma_f64 v[186:187], v[140:141], v[252:253], -v[154:155]
	v_fma_f64 v[154:155], v[148:149], v[252:253], v[168:169]
	global_load_dwordx4 v[252:255], v103, s[8:9] offset:144
	s_waitcnt vmcnt(8)
	v_mul_f64 v[170:171], v[146:147], v[174:175]
	v_fma_f64 v[152:153], v[138:139], v[172:173], -v[170:171]
	v_mul_f64 v[138:139], v[138:139], v[174:175]
	v_fma_f64 v[150:151], v[146:147], v[172:173], v[138:139]
	global_load_dwordx4 v[138:141], v223, s[8:9] offset:176
	s_waitcnt vmcnt(6) lgkmcnt(9)
	v_mul_f64 v[168:169], v[144:145], v[198:199]
	v_mul_f64 v[146:147], v[124:125], v[198:199]
	v_fma_f64 v[168:169], v[124:125], v[196:197], -v[168:169]
	s_waitcnt vmcnt(5)
	v_mul_f64 v[124:125], v[122:123], v[208:209]
	v_mul_f64 v[172:173], v[142:143], v[208:209]
	v_fma_f64 v[170:171], v[144:145], v[196:197], v[146:147]
	global_load_dwordx4 v[196:199], v103, s[8:9] offset:160
	v_fma_f64 v[174:175], v[142:143], v[206:207], v[124:125]
	v_fma_f64 v[146:147], v[122:123], v[206:207], -v[172:173]
	s_waitcnt vmcnt(5) lgkmcnt(8)
	v_mul_f64 v[144:145], v[136:137], v[194:195]
	v_mul_f64 v[142:143], v[100:101], v[194:195]
	global_load_dwordx4 v[122:125], v223, s[8:9] offset:192
	v_fma_f64 v[172:173], v[100:101], v[192:193], -v[144:145]
	v_fma_f64 v[148:149], v[136:137], v[192:193], v[142:143]
	global_load_dwordx4 v[142:145], v103, s[8:9] offset:176
	s_waitcnt vmcnt(6)
	v_mul_f64 v[100:101], v[134:135], v[226:227]
	v_fma_f64 v[100:101], v[98:99], v[224:225], -v[100:101]
	v_mul_f64 v[98:99], v[98:99], v[226:227]
	s_waitcnt vmcnt(5) lgkmcnt(7)
	v_mul_f64 v[136:137], v[132:133], v[230:231]
	v_fma_f64 v[134:135], v[134:135], v[224:225], v[98:99]
	global_load_dwordx4 v[224:227], v223, s[8:9] offset:208
	v_mul_f64 v[98:99], v[84:85], v[230:231]
	v_fma_f64 v[192:193], v[84:85], v[228:229], -v[136:137]
	s_waitcnt vmcnt(5)
	v_mul_f64 v[84:85], v[130:131], v[254:255]
	v_fma_f64 v[194:195], v[132:133], v[228:229], v[98:99]
	global_load_dwordx4 v[228:231], v223, s[8:9] offset:224
	v_fma_f64 v[98:99], v[82:83], v[252:253], -v[84:85]
	v_mul_f64 v[82:83], v[82:83], v[254:255]
	v_fma_f64 v[130:131], v[130:131], v[252:253], v[82:83]
	global_load_dwordx4 v[82:85], v103, s[8:9] offset:192
	s_waitcnt vmcnt(6) lgkmcnt(6)
	v_mul_f64 v[132:133], v[128:129], v[140:141]
	v_mul_f64 v[136:137], v[58:59], v[140:141]
	v_fma_f64 v[202:203], v[58:59], v[138:139], -v[132:133]
	v_fma_f64 v[206:207], v[128:129], v[138:139], v[136:137]
	s_waitcnt vmcnt(5)
	v_mul_f64 v[140:141], v[126:127], v[198:199]
	v_mul_f64 v[58:59], v[56:57], v[198:199]
	v_fma_f64 v[56:57], v[56:57], v[196:197], -v[140:141]
	s_waitcnt vmcnt(4) lgkmcnt(5)
	v_mul_f64 v[128:129], v[120:121], v[124:125]
	v_fma_f64 v[58:59], v[126:127], v[196:197], v[58:59]
	v_mul_f64 v[132:133], v[54:55], v[124:125]
	global_load_dwordx4 v[124:127], v103, s[8:9] offset:208
	s_waitcnt vmcnt(4)
	v_mul_f64 v[136:137], v[118:119], v[144:145]
	v_mul_f64 v[140:141], v[52:53], v[144:145]
	v_fma_f64 v[208:209], v[54:55], v[122:123], -v[128:129]
	v_add_u32_e32 v128, 34, v234
	v_fma_f64 v[210:211], v[120:121], v[122:123], v[132:133]
	global_load_dwordx4 v[120:123], v223, s[8:9] offset:240
	v_fma_f64 v[54:55], v[52:53], v[142:143], -v[136:137]
	global_load_dwordx4 v[136:139], v103, s[8:9] offset:224
	v_fma_f64 v[52:53], v[118:119], v[142:143], v[140:141]
	v_mul_lo_u16_sdwa v118, v128, v222 dst_sel:DWORD dst_unused:UNUSED_PAD src0_sel:BYTE_0 src1_sel:DWORD
	v_sub_u16_sdwa v119, v128, v118 dst_sel:DWORD dst_unused:UNUSED_PAD src0_sel:DWORD src1_sel:BYTE_1
	v_lshrrev_b16_e32 v119, 1, v119
	v_and_b32_e32 v119, 0x7f, v119
	v_add_u16_sdwa v118, v119, v118 dst_sel:DWORD dst_unused:UNUSED_PAD src0_sel:DWORD src1_sel:BYTE_1
	v_lshrrev_b16_e32 v118, 2, v118
	v_mul_lo_u16_e32 v129, 7, v118
	v_sub_u16_e32 v129, v128, v129
	buffer_store_dword v129, off, s[60:63], 0 offset:16 ; 4-byte Folded Spill
	v_lshlrev_b32_sdwa v129, v102, v129 dst_sel:DWORD dst_unused:UNUSED_PAD src0_sel:DWORD src1_sel:BYTE_0
	global_load_dwordx4 v[140:143], v129, s[8:9]
	s_waitcnt vmcnt(7) lgkmcnt(4)
	v_mul_f64 v[118:119], v[112:113], v[226:227]
	global_load_dwordx4 v[196:199], v129, s[8:9] offset:16
	v_mul_f64 v[132:133], v[50:51], v[226:227]
	global_load_dwordx4 v[252:255], v129, s[8:9] offset:64
	v_fma_f64 v[222:223], v[50:51], v[224:225], -v[118:119]
	s_waitcnt vmcnt(8) lgkmcnt(3)
	v_mul_f64 v[50:51], v[108:109], v[230:231]
	v_fma_f64 v[224:225], v[112:113], v[224:225], v[132:133]
	v_mul_f64 v[112:113], v[46:47], v[230:231]
	v_fma_f64 v[226:227], v[46:47], v[228:229], -v[50:51]
	v_fma_f64 v[228:229], v[108:109], v[228:229], v[112:113]
	s_waitcnt vmcnt(7)
	v_mul_f64 v[46:47], v[110:111], v[84:85]
	v_fma_f64 v[132:133], v[48:49], v[82:83], -v[46:47]
	v_mul_f64 v[48:49], v[48:49], v[84:85]
	v_fma_f64 v[48:49], v[110:111], v[82:83], v[48:49]
	global_load_dwordx4 v[82:85], v129, s[8:9] offset:32
	s_waitcnt vmcnt(7)
	v_mul_f64 v[50:51], v[106:107], v[126:127]
	v_mul_f64 v[108:109], v[44:45], v[126:127]
	v_fma_f64 v[44:45], v[44:45], v[124:125], -v[50:51]
	v_fma_f64 v[50:51], v[106:107], v[124:125], v[108:109]
	s_waitcnt vmcnt(6) lgkmcnt(2)
	v_mul_f64 v[112:113], v[92:93], v[122:123]
	global_load_dwordx4 v[108:111], v103, s[8:9] offset:240
	v_mul_f64 v[118:119], v[34:35], v[122:123]
	global_load_dwordx4 v[122:125], v129, s[8:9] offset:48
	s_waitcnt vmcnt(7)
	v_mul_f64 v[102:103], v[90:91], v[138:139]
	v_fma_f64 v[230:231], v[34:35], v[120:121], -v[112:113]
	v_mul_f64 v[34:35], v[32:33], v[138:139]
	v_fma_f64 v[46:47], v[92:93], v[120:121], v[118:119]
	v_fma_f64 v[32:33], v[32:33], v[136:137], -v[102:103]
	s_waitcnt vmcnt(5)
	v_mul_f64 v[102:103], v[104:105], v[142:143]
	v_mul_f64 v[106:107], v[42:43], v[142:143]
	v_fma_f64 v[34:35], v[90:91], v[136:137], v[34:35]
	global_load_dwordx4 v[90:93], v129, s[8:9] offset:80
	v_fma_f64 v[42:43], v[42:43], v[140:141], -v[102:103]
	buffer_store_dword v42, off, s[60:63], 0 offset:196 ; 4-byte Folded Spill
	s_nop 0
	buffer_store_dword v43, off, s[60:63], 0 offset:200 ; 4-byte Folded Spill
	v_fma_f64 v[42:43], v[104:105], v[140:141], v[106:107]
	global_load_dwordx4 v[136:139], v129, s[8:9] offset:96
	s_nop 0
	buffer_store_dword v42, off, s[60:63], 0 offset:212 ; 4-byte Folded Spill
	s_nop 0
	buffer_store_dword v43, off, s[60:63], 0 offset:216 ; 4-byte Folded Spill
	s_waitcnt vmcnt(10)
	v_mul_f64 v[42:43], v[94:95], v[198:199]
	v_mul_f64 v[102:103], v[36:37], v[198:199]
	global_load_dwordx4 v[142:145], v129, s[8:9] offset:112
	v_fma_f64 v[36:37], v[36:37], v[196:197], -v[42:43]
	buffer_store_dword v36, off, s[60:63], 0 offset:164 ; 4-byte Folded Spill
	s_nop 0
	buffer_store_dword v37, off, s[60:63], 0 offset:168 ; 4-byte Folded Spill
	v_fma_f64 v[36:37], v[94:95], v[196:197], v[102:103]
	buffer_store_dword v36, off, s[60:63], 0 offset:180 ; 4-byte Folded Spill
	s_nop 0
	buffer_store_dword v37, off, s[60:63], 0 offset:184 ; 4-byte Folded Spill
	s_waitcnt vmcnt(13)
	v_mul_f64 v[36:37], v[96:97], v[84:85]
	global_load_dwordx4 v[196:199], v129, s[8:9] offset:128
	v_mul_f64 v[42:43], v[88:89], v[254:255]
	v_fma_f64 v[36:37], v[38:39], v[82:83], -v[36:37]
	buffer_store_dword v36, off, s[60:63], 0 offset:140 ; 4-byte Folded Spill
	s_nop 0
	buffer_store_dword v37, off, s[60:63], 0 offset:144 ; 4-byte Folded Spill
	v_mul_f64 v[36:37], v[38:39], v[84:85]
	s_waitcnt vmcnt(14)
	v_mul_f64 v[38:39], v[86:87], v[124:125]
	v_fma_f64 v[36:37], v[96:97], v[82:83], v[36:37]
	buffer_store_dword v36, off, s[60:63], 0 offset:132 ; 4-byte Folded Spill
	s_nop 0
	buffer_store_dword v37, off, s[60:63], 0 offset:136 ; 4-byte Folded Spill
	v_mul_f64 v[36:37], v[28:29], v[124:125]
	v_fma_f64 v[28:29], v[28:29], v[122:123], -v[38:39]
	buffer_store_dword v28, off, s[60:63], 0 offset:124 ; 4-byte Folded Spill
	s_nop 0
	buffer_store_dword v29, off, s[60:63], 0 offset:128 ; 4-byte Folded Spill
	v_fma_f64 v[28:29], v[86:87], v[122:123], v[36:37]
	buffer_store_dword v28, off, s[60:63], 0 offset:116 ; 4-byte Folded Spill
	s_nop 0
	buffer_store_dword v29, off, s[60:63], 0 offset:120 ; 4-byte Folded Spill
	v_fma_f64 v[28:29], v[30:31], v[252:253], -v[42:43]
	v_mul_f64 v[82:83], v[30:31], v[254:255]
	s_waitcnt vmcnt(19)
	v_mul_f64 v[42:43], v[76:77], v[92:93]
	global_load_dwordx4 v[36:39], v129, s[8:9] offset:144
	s_nop 0
	buffer_store_dword v28, off, s[60:63], 0 offset:100 ; 4-byte Folded Spill
	s_nop 0
	buffer_store_dword v29, off, s[60:63], 0 offset:104 ; 4-byte Folded Spill
	v_fma_f64 v[28:29], v[88:89], v[252:253], v[82:83]
	v_mul_f64 v[84:85], v[24:25], v[92:93]
	v_fma_f64 v[24:25], v[24:25], v[90:91], -v[42:43]
	buffer_store_dword v28, off, s[60:63], 0 offset:92 ; 4-byte Folded Spill
	s_nop 0
	buffer_store_dword v29, off, s[60:63], 0 offset:96 ; 4-byte Folded Spill
	global_load_dwordx4 v[28:31], v129, s[8:9] offset:160
	s_nop 0
	buffer_store_dword v24, off, s[60:63], 0 offset:76 ; 4-byte Folded Spill
	s_nop 0
	buffer_store_dword v25, off, s[60:63], 0 offset:80 ; 4-byte Folded Spill
	v_fma_f64 v[24:25], v[76:77], v[90:91], v[84:85]
	s_waitcnt vmcnt(24)
	v_mul_f64 v[86:87], v[78:79], v[138:139]
	v_mul_f64 v[92:93], v[26:27], v[138:139]
	buffer_store_dword v24, off, s[60:63], 0 offset:68 ; 4-byte Folded Spill
	s_nop 0
	buffer_store_dword v25, off, s[60:63], 0 offset:72 ; 4-byte Folded Spill
	v_fma_f64 v[24:25], v[26:27], v[136:137], -v[86:87]
	v_fma_f64 v[42:43], v[78:79], v[136:137], v[92:93]
	global_load_dwordx4 v[82:85], v129, s[8:9] offset:176
	s_nop 0
	buffer_store_dword v24, off, s[60:63], 0 offset:60 ; 4-byte Folded Spill
	s_nop 0
	buffer_store_dword v25, off, s[60:63], 0 offset:64 ; 4-byte Folded Spill
	global_load_dwordx4 v[24:27], v129, s[8:9] offset:192
	s_nop 0
	buffer_store_dword v42, off, s[60:63], 0 offset:52 ; 4-byte Folded Spill
	s_nop 0
	buffer_store_dword v43, off, s[60:63], 0 offset:56 ; 4-byte Folded Spill
	s_waitcnt vmcnt(29)
	v_mul_f64 v[42:43], v[72:73], v[144:145]
	v_mul_f64 v[86:87], v[20:21], v[144:145]
	global_load_dwordx4 v[76:79], v129, s[8:9] offset:208
	s_waitcnt vmcnt(25)
	v_mul_f64 v[90:91], v[74:75], v[198:199]
	v_fma_f64 v[20:21], v[20:21], v[142:143], -v[42:43]
	buffer_store_dword v20, off, s[60:63], 0 offset:28 ; 4-byte Folded Spill
	s_nop 0
	buffer_store_dword v21, off, s[60:63], 0 offset:32 ; 4-byte Folded Spill
	v_fma_f64 v[20:21], v[72:73], v[142:143], v[86:87]
	buffer_store_dword v20, off, s[60:63], 0 offset:20 ; 4-byte Folded Spill
	s_nop 0
	buffer_store_dword v21, off, s[60:63], 0 offset:24 ; 4-byte Folded Spill
	v_fma_f64 v[20:21], v[22:23], v[196:197], -v[90:91]
	buffer_store_dword v20, off, s[60:63], 0 offset:36 ; 4-byte Folded Spill
	s_nop 0
	buffer_store_dword v21, off, s[60:63], 0 offset:40 ; 4-byte Folded Spill
	global_load_dwordx4 v[142:145], v129, s[8:9] offset:224
	global_load_dwordx4 v[252:255], v129, s[8:9] offset:240
	v_mul_f64 v[20:21], v[22:23], v[198:199]
	v_mul_f64 v[22:23], v[6:7], v[116:117]
	s_waitcnt lgkmcnt(0)
	v_mul_f64 v[42:43], v[248:249], v[110:111]
	v_mov_b32_e32 v128, v156
	v_mov_b32_e32 v129, v157
	s_waitcnt vmcnt(24)
	v_mul_f64 v[72:73], v[68:69], v[38:39]
	v_mul_f64 v[38:39], v[16:17], v[38:39]
	v_fma_f64 v[20:21], v[74:75], v[196:197], v[20:21]
	buffer_store_dword v20, off, s[60:63], 0 offset:44 ; 4-byte Folded Spill
	s_nop 0
	buffer_store_dword v21, off, s[60:63], 0 offset:48 ; 4-byte Folded Spill
	v_fma_f64 v[16:17], v[16:17], v[36:37], -v[72:73]
	v_mul_f64 v[20:21], v[2:3], v[116:117]
	v_fma_f64 v[22:23], v[2:3], v[114:115], v[22:23]
	v_fma_f64 v[2:3], v[244:245], v[108:109], -v[42:43]
	s_waitcnt vmcnt(21)
	v_mul_f64 v[42:43], v[70:71], v[30:31]
	buffer_store_dword v16, off, s[60:63], 0 offset:84 ; 4-byte Folded Spill
	s_nop 0
	buffer_store_dword v17, off, s[60:63], 0 offset:88 ; 4-byte Folded Spill
	v_mul_f64 v[16:17], v[18:19], v[30:31]
	v_fma_f64 v[20:21], v[6:7], v[114:115], -v[20:21]
	v_mul_f64 v[6:7], v[244:245], v[110:111]
	v_fma_f64 v[18:19], v[18:19], v[28:29], -v[42:43]
	buffer_store_dword v18, off, s[60:63], 0 offset:108 ; 4-byte Folded Spill
	s_nop 0
	buffer_store_dword v19, off, s[60:63], 0 offset:112 ; 4-byte Folded Spill
	s_waitcnt vmcnt(20)
	v_mul_f64 v[30:31], v[64:65], v[84:85]
	v_fma_f64 v[6:7], v[248:249], v[108:109], v[6:7]
	v_fma_f64 v[108:109], v[68:69], v[36:37], v[38:39]
	s_waitcnt vmcnt(17)
	v_mul_f64 v[18:19], v[66:67], v[26:27]
	v_mul_f64 v[36:37], v[12:13], v[84:85]
	;; [unrolled: 1-line block ×3, first 2 shown]
	v_fma_f64 v[114:115], v[70:71], v[28:29], v[16:17]
	s_waitcnt vmcnt(14)
	v_mul_f64 v[38:39], v[60:61], v[78:79]
	v_fma_f64 v[12:13], v[12:13], v[82:83], -v[30:31]
	buffer_store_dword v12, off, s[60:63], 0 offset:148 ; 4-byte Folded Spill
	s_nop 0
	buffer_store_dword v13, off, s[60:63], 0 offset:152 ; 4-byte Folded Spill
	v_fma_f64 v[14:15], v[14:15], v[24:25], -v[18:19]
	buffer_store_dword v14, off, s[60:63], 0 offset:172 ; 4-byte Folded Spill
	s_nop 0
	buffer_store_dword v15, off, s[60:63], 0 offset:176 ; 4-byte Folded Spill
	v_fma_f64 v[14:15], v[66:67], v[24:25], v[26:27]
	buffer_store_dword v14, off, s[60:63], 0 offset:156 ; 4-byte Folded Spill
	s_nop 0
	buffer_store_dword v15, off, s[60:63], 0 offset:160 ; 4-byte Folded Spill
	v_add_f64 v[12:13], v[22:23], -v[46:47]
	v_fma_f64 v[116:117], v[8:9], v[76:77], -v[38:39]
	v_mul_f64 v[8:9], v[8:9], v[78:79]
	v_add_f64 v[14:15], v[20:21], v[230:231]
	v_add_f64 v[68:69], v[218:219], v[226:227]
	s_waitcnt vmcnt(13)
	v_mul_f64 v[18:19], v[62:63], v[144:145]
	v_mul_f64 v[24:25], v[10:11], v[144:145]
	s_waitcnt vmcnt(12)
	v_mul_f64 v[26:27], v[246:247], v[254:255]
	v_mul_f64 v[16:17], v[12:13], s[28:29]
	;; [unrolled: 1-line block ×3, first 2 shown]
	v_fma_f64 v[254:255], v[60:61], v[76:77], v[8:9]
	v_mul_f64 v[30:31], v[12:13], s[6:7]
	v_mul_f64 v[38:39], v[12:13], s[16:17]
	v_fma_f64 v[112:113], v[10:11], v[142:143], -v[18:19]
	v_fma_f64 v[10:11], v[62:63], v[142:143], v[24:25]
	buffer_store_dword v10, off, s[60:63], 0 offset:220 ; 4-byte Folded Spill
	s_nop 0
	buffer_store_dword v11, off, s[60:63], 0 offset:224 ; 4-byte Folded Spill
	buffer_store_dword v220, off, s[60:63], 0 offset:356 ; 4-byte Folded Spill
	s_nop 0
	buffer_store_dword v221, off, s[60:63], 0 offset:360 ; 4-byte Folded Spill
	v_fma_f64 v[8:9], v[14:15], s[20:21], -v[16:17]
	v_fma_f64 v[103:104], v[242:243], v[252:253], -v[26:27]
	v_mul_f64 v[10:11], v[12:13], s[42:43]
	v_mul_f64 v[18:19], v[12:13], s[48:49]
	;; [unrolled: 1-line block ×5, first 2 shown]
	v_fma_f64 v[74:75], v[64:65], v[82:83], v[36:37]
	v_fma_f64 v[252:253], v[246:247], v[252:253], v[28:29]
	v_add_f64 v[8:9], v[240:241], v[8:9]
	v_fma_f64 v[16:17], v[14:15], s[20:21], v[16:17]
	v_fma_f64 v[24:25], v[14:15], s[14:15], -v[10:11]
	v_fma_f64 v[10:11], v[14:15], s[14:15], v[10:11]
	v_fma_f64 v[28:29], v[14:15], s[12:13], -v[18:19]
	;; [unrolled: 2-line block ×7, first 2 shown]
	v_fma_f64 v[12:13], v[14:15], s[34:35], v[12:13]
	v_add_f64 v[16:17], v[240:241], v[16:17]
	v_add_f64 v[24:25], v[240:241], v[24:25]
	;; [unrolled: 1-line block ×3, first 2 shown]
	buffer_store_dword v40, off, s[60:63], 0 offset:332 ; 4-byte Folded Spill
	s_nop 0
	buffer_store_dword v41, off, s[60:63], 0 offset:336 ; 4-byte Folded Spill
	v_add_f64 v[28:29], v[240:241], v[28:29]
	v_add_f64 v[18:19], v[240:241], v[18:19]
	;; [unrolled: 1-line block ×12, first 2 shown]
	buffer_store_dword v80, off, s[60:63], 0 offset:348 ; 4-byte Folded Spill
	s_nop 0
	buffer_store_dword v81, off, s[60:63], 0 offset:352 ; 4-byte Folded Spill
	buffer_store_dword v190, off, s[60:63], 0 offset:340 ; 4-byte Folded Spill
	s_nop 0
	buffer_store_dword v191, off, s[60:63], 0 offset:344 ; 4-byte Folded Spill
	;; [unrolled: 3-line block ×3, first 2 shown]
	v_mov_b32_e32 v84, 3
	v_mad_u32_u24 v70, v250, s33, 0
	v_lshlrev_b32_sdwa v71, v84, v251 dst_sel:DWORD dst_unused:UNUSED_PAD src0_sel:DWORD src1_sel:BYTE_0
	v_add_f64 v[144:145], v[204:205], v[32:33]
	v_add_f64 v[248:249], v[146:147], v[100:101]
	v_add_f64 v[62:63], v[220:221], -v[228:229]
	v_mul_f64 v[72:73], v[62:63], s[42:43]
	v_fma_f64 v[14:15], v[68:69], s[14:15], -v[72:73]
	v_add_f64 v[8:9], v[14:15], v[8:9]
	v_fma_f64 v[14:15], v[68:69], s[14:15], v[72:73]
	v_mul_f64 v[72:73], v[62:63], s[36:37]
	v_add_f64 v[14:15], v[14:15], v[16:17]
	v_fma_f64 v[16:17], v[68:69], s[4:5], -v[72:73]
	v_add_f64 v[16:17], v[16:17], v[24:25]
	v_fma_f64 v[24:25], v[68:69], s[4:5], v[72:73]
	v_mul_f64 v[72:73], v[62:63], s[16:17]
	v_add_f64 v[10:11], v[24:25], v[10:11]
	;; [unrolled: 5-line block ×5, first 2 shown]
	v_fma_f64 v[42:43], v[68:69], s[10:11], -v[72:73]
	v_add_f64 v[42:43], v[42:43], v[60:61]
	v_fma_f64 v[60:61], v[68:69], s[10:11], v[72:73]
	v_mul_f64 v[72:73], v[62:63], s[22:23]
	v_mul_f64 v[62:63], v[62:63], s[38:39]
	v_add_f64 v[38:39], v[60:61], v[38:39]
	v_fma_f64 v[60:61], v[68:69], s[12:13], -v[72:73]
	v_fma_f64 v[72:73], v[68:69], s[12:13], v[72:73]
	v_add_f64 v[60:61], v[60:61], v[76:77]
	v_fma_f64 v[76:77], v[68:69], s[20:21], -v[62:63]
	v_add_f64 v[66:67], v[72:73], v[66:67]
	v_add_f64 v[72:73], v[40:41], -v[224:225]
	v_fma_f64 v[62:63], v[68:69], s[20:21], v[62:63]
	v_add_f64 v[68:69], v[182:183], v[222:223]
	v_add_f64 v[76:77], v[76:77], v[78:79]
	v_mul_f64 v[78:79], v[72:73], s[48:49]
	v_add_f64 v[12:13], v[62:63], v[12:13]
	v_fma_f64 v[62:63], v[68:69], s[12:13], -v[78:79]
	v_add_f64 v[8:9], v[62:63], v[8:9]
	v_fma_f64 v[62:63], v[68:69], s[12:13], v[78:79]
	v_mul_f64 v[78:79], v[72:73], s[16:17]
	v_add_f64 v[14:15], v[62:63], v[14:15]
	v_fma_f64 v[62:63], v[68:69], s[18:19], -v[78:79]
	v_add_f64 v[16:17], v[62:63], v[16:17]
	v_fma_f64 v[62:63], v[68:69], s[18:19], v[78:79]
	;; [unrolled: 5-line block ×6, first 2 shown]
	v_mul_f64 v[78:79], v[72:73], s[36:37]
	v_mul_f64 v[72:73], v[72:73], s[24:25]
	v_add_f64 v[38:39], v[62:63], v[38:39]
	v_fma_f64 v[62:63], v[68:69], s[4:5], -v[78:79]
	v_fma_f64 v[78:79], v[68:69], s[4:5], v[78:79]
	v_add_f64 v[60:61], v[62:63], v[60:61]
	v_fma_f64 v[62:63], v[68:69], s[26:27], -v[72:73]
	v_add_f64 v[66:67], v[78:79], v[66:67]
	v_add_f64 v[78:79], v[80:81], -v[210:211]
	v_fma_f64 v[68:69], v[68:69], s[26:27], v[72:73]
	v_add_f64 v[72:73], v[180:181], v[208:209]
	v_mov_b32_e32 v81, v53
	v_mov_b32_e32 v80, v52
	v_add_f64 v[62:63], v[62:63], v[76:77]
	v_mul_f64 v[76:77], v[78:79], s[36:37]
	v_add_f64 v[12:13], v[68:69], v[12:13]
	v_fma_f64 v[68:69], v[72:73], s[4:5], -v[76:77]
	v_add_f64 v[8:9], v[68:69], v[8:9]
	v_fma_f64 v[68:69], v[72:73], s[4:5], v[76:77]
	v_mul_f64 v[76:77], v[78:79], s[30:31]
	v_add_f64 v[14:15], v[68:69], v[14:15]
	v_fma_f64 v[68:69], v[72:73], s[34:35], -v[76:77]
	v_add_f64 v[16:17], v[68:69], v[16:17]
	v_fma_f64 v[68:69], v[72:73], s[34:35], v[76:77]
	;; [unrolled: 5-line block ×6, first 2 shown]
	v_mul_f64 v[76:77], v[78:79], s[46:47]
	v_mul_f64 v[78:79], v[78:79], s[40:41]
	v_add_f64 v[38:39], v[68:69], v[38:39]
	v_fma_f64 v[68:69], v[72:73], s[18:19], -v[76:77]
	v_fma_f64 v[76:77], v[72:73], s[18:19], v[76:77]
	v_add_f64 v[60:61], v[68:69], v[60:61]
	v_fma_f64 v[68:69], v[72:73], s[14:15], -v[78:79]
	v_add_f64 v[66:67], v[76:77], v[66:67]
	v_add_f64 v[76:77], v[190:191], -v[206:207]
	v_add_f64 v[62:63], v[68:69], v[62:63]
	v_fma_f64 v[68:69], v[72:73], s[14:15], v[78:79]
	v_add_f64 v[72:73], v[200:201], v[202:203]
	v_mul_f64 v[78:79], v[76:77], s[6:7]
	v_add_f64 v[12:13], v[68:69], v[12:13]
	v_fma_f64 v[68:69], v[72:73], s[10:11], -v[78:79]
	v_add_f64 v[8:9], v[68:69], v[8:9]
	v_fma_f64 v[68:69], v[72:73], s[10:11], v[78:79]
	v_mul_f64 v[78:79], v[76:77], s[52:53]
	v_add_f64 v[14:15], v[68:69], v[14:15]
	v_fma_f64 v[68:69], v[72:73], s[26:27], -v[78:79]
	v_add_f64 v[16:17], v[68:69], v[16:17]
	v_fma_f64 v[68:69], v[72:73], s[26:27], v[78:79]
	;; [unrolled: 5-line block ×6, first 2 shown]
	v_mul_f64 v[78:79], v[76:77], s[28:29]
	v_mul_f64 v[76:77], v[76:77], s[16:17]
	v_add_f64 v[38:39], v[68:69], v[38:39]
	v_fma_f64 v[68:69], v[72:73], s[20:21], -v[78:79]
	v_fma_f64 v[78:79], v[72:73], s[20:21], v[78:79]
	v_add_f64 v[60:61], v[68:69], v[60:61]
	v_fma_f64 v[68:69], v[72:73], s[18:19], -v[76:77]
	v_add_f64 v[66:67], v[78:79], v[66:67]
	v_add_f64 v[78:79], v[216:217], -v[194:195]
	v_add_f64 v[62:63], v[68:69], v[62:63]
	v_fma_f64 v[68:69], v[72:73], s[18:19], v[76:77]
	v_add_f64 v[72:73], v[188:189], v[192:193]
	v_mul_f64 v[76:77], v[78:79], s[16:17]
	v_add_f64 v[12:13], v[68:69], v[12:13]
	v_fma_f64 v[68:69], v[72:73], s[18:19], -v[76:77]
	v_add_f64 v[8:9], v[68:69], v[8:9]
	v_fma_f64 v[68:69], v[72:73], s[18:19], v[76:77]
	v_mul_f64 v[76:77], v[78:79], s[50:51]
	v_add_f64 v[14:15], v[68:69], v[14:15]
	v_fma_f64 v[68:69], v[72:73], s[10:11], -v[76:77]
	v_add_f64 v[16:17], v[68:69], v[16:17]
	v_fma_f64 v[68:69], v[72:73], s[10:11], v[76:77]
	;; [unrolled: 5-line block ×6, first 2 shown]
	v_mul_f64 v[76:77], v[78:79], s[30:31]
	v_mul_f64 v[78:79], v[78:79], s[22:23]
	v_add_f64 v[38:39], v[68:69], v[38:39]
	v_fma_f64 v[68:69], v[72:73], s[34:35], -v[76:77]
	v_fma_f64 v[76:77], v[72:73], s[34:35], v[76:77]
	v_add_f64 v[60:61], v[68:69], v[60:61]
	v_fma_f64 v[68:69], v[72:73], s[12:13], -v[78:79]
	v_add_f64 v[66:67], v[76:77], v[66:67]
	v_add_f64 v[76:77], v[156:157], -v[148:149]
	v_mov_b32_e32 v156, v186
	v_mov_b32_e32 v157, v187
	;; [unrolled: 1-line block ×5, first 2 shown]
	v_add_f64 v[62:63], v[68:69], v[62:63]
	v_fma_f64 v[68:69], v[72:73], s[12:13], v[78:79]
	v_add_f64 v[72:73], v[166:167], v[172:173]
	v_mul_f64 v[78:79], v[76:77], s[24:25]
	buffer_store_dword v166, off, s[60:63], 0 offset:316 ; 4-byte Folded Spill
	s_nop 0
	buffer_store_dword v167, off, s[60:63], 0 offset:320 ; 4-byte Folded Spill
	v_mov_b32_e32 v200, v180
	buffer_store_dword v184, off, s[60:63], 0 offset:308 ; 4-byte Folded Spill
	s_nop 0
	buffer_store_dword v185, off, s[60:63], 0 offset:312 ; 4-byte Folded Spill
	buffer_load_dword v216, off, s[60:63], 0 offset:12 ; 4-byte Folded Reload
	v_add_f64 v[12:13], v[68:69], v[12:13]
	; wave barrier
	v_fma_f64 v[68:69], v[72:73], s[26:27], -v[78:79]
	v_add_f64 v[8:9], v[68:69], v[8:9]
	v_fma_f64 v[68:69], v[72:73], s[26:27], v[78:79]
	v_mul_f64 v[78:79], v[76:77], s[22:23]
	v_add_f64 v[14:15], v[68:69], v[14:15]
	v_fma_f64 v[68:69], v[72:73], s[12:13], -v[78:79]
	v_add_f64 v[16:17], v[68:69], v[16:17]
	v_fma_f64 v[68:69], v[72:73], s[12:13], v[78:79]
	v_mul_f64 v[78:79], v[76:77], s[36:37]
	v_add_f64 v[10:11], v[68:69], v[10:11]
	;; [unrolled: 5-line block ×5, first 2 shown]
	v_fma_f64 v[28:29], v[72:73], s[34:35], -v[78:79]
	v_add_f64 v[82:83], v[28:29], v[42:43]
	v_fma_f64 v[28:29], v[72:73], s[34:35], v[78:79]
	v_mul_f64 v[42:43], v[76:77], s[40:41]
	v_mul_f64 v[76:77], v[76:77], s[6:7]
	v_add_f64 v[78:79], v[154:155], -v[170:171]
	v_add_f64 v[38:39], v[28:29], v[38:39]
	v_fma_f64 v[28:29], v[72:73], s[14:15], -v[42:43]
	v_fma_f64 v[42:43], v[72:73], s[14:15], v[42:43]
	v_add_f64 v[60:61], v[28:29], v[60:61]
	v_fma_f64 v[28:29], v[72:73], s[10:11], -v[76:77]
	v_add_f64 v[66:67], v[42:43], v[66:67]
	v_mul_f64 v[42:43], v[78:79], s[30:31]
	v_add_f64 v[62:63], v[28:29], v[62:63]
	v_fma_f64 v[28:29], v[72:73], s[10:11], v[76:77]
	v_add_f64 v[72:73], v[156:157], v[168:169]
	v_add_f64 v[76:77], v[28:29], v[12:13]
	v_fma_f64 v[12:13], v[72:73], s[34:35], -v[42:43]
	v_add_f64 v[124:125], v[12:13], v[8:9]
	v_fma_f64 v[8:9], v[72:73], s[34:35], v[42:43]
	v_mul_f64 v[12:13], v[78:79], s[38:39]
	v_add_f64 v[8:9], v[8:9], v[14:15]
	v_fma_f64 v[14:15], v[72:73], s[20:21], -v[12:13]
	v_fma_f64 v[12:13], v[72:73], s[20:21], v[12:13]
	v_add_f64 v[28:29], v[14:15], v[16:17]
	v_mul_f64 v[14:15], v[78:79], s[24:25]
	v_add_f64 v[10:11], v[12:13], v[10:11]
	v_fma_f64 v[12:13], v[72:73], s[26:27], -v[14:15]
	v_add_f64 v[42:43], v[12:13], v[24:25]
	v_fma_f64 v[12:13], v[72:73], s[26:27], v[14:15]
	v_mul_f64 v[14:15], v[78:79], s[40:41]
	v_add_f64 v[12:13], v[12:13], v[18:19]
	v_fma_f64 v[16:17], v[72:73], s[14:15], -v[14:15]
	v_fma_f64 v[14:15], v[72:73], s[14:15], v[14:15]
	v_add_f64 v[24:25], v[16:17], v[68:69]
	v_mul_f64 v[16:17], v[78:79], s[16:17]
	v_add_f64 v[14:15], v[14:15], v[26:27]
	v_mul_f64 v[68:69], v[78:79], s[44:45]
	v_fma_f64 v[18:19], v[72:73], s[18:19], -v[16:17]
	v_fma_f64 v[16:17], v[72:73], s[18:19], v[16:17]
	v_add_f64 v[36:37], v[18:19], v[36:37]
	v_mul_f64 v[18:19], v[78:79], s[22:23]
	v_add_f64 v[16:17], v[16:17], v[30:31]
	v_mul_f64 v[30:31], v[78:79], s[6:7]
	v_fma_f64 v[78:79], v[72:73], s[4:5], -v[68:69]
	v_fma_f64 v[26:27], v[72:73], s[12:13], -v[18:19]
	v_fma_f64 v[18:19], v[72:73], s[12:13], v[18:19]
	v_add_f64 v[62:63], v[78:79], v[62:63]
	v_add_f64 v[26:27], v[26:27], v[82:83]
	v_add_f64 v[18:19], v[18:19], v[38:39]
	v_fma_f64 v[38:39], v[72:73], s[10:11], -v[30:31]
	v_fma_f64 v[30:31], v[72:73], s[10:11], v[30:31]
	v_fma_f64 v[72:73], v[72:73], s[4:5], v[68:69]
	v_add_f64 v[68:69], v[240:241], v[20:21]
	v_add_f64 v[68:69], v[68:69], v[218:219]
	;; [unrolled: 1-line block ×19, first 2 shown]
	v_add_f64 v[60:61], v[184:185], -v[6:7]
	v_add_f64 v[142:143], v[82:83], v[230:231]
	s_waitcnt vmcnt(0)
	v_add3_u32 v82, v70, v71, v216
	ds_write2_b64 v82, v[28:29], v[42:43] offset0:14 offset1:21
	ds_write2_b64 v82, v[24:25], v[36:37] offset0:28 offset1:35
	;; [unrolled: 1-line block ×5, first 2 shown]
	v_mul_f64 v[78:79], v[60:61], s[48:49]
	ds_write2_b64 v82, v[142:143], v[124:125] offset1:7
	buffer_store_dword v235, off, s[60:63], 0 offset:300 ; 4-byte Folded Spill
	s_nop 0
	buffer_store_dword v236, off, s[60:63], 0 offset:304 ; 4-byte Folded Spill
	buffer_store_dword v178, off, s[60:63], 0 offset:292 ; 4-byte Folded Spill
	s_nop 0
	buffer_store_dword v179, off, s[60:63], 0 offset:296 ; 4-byte Folded Spill
	v_mul_f64 v[72:73], v[60:61], s[28:29]
	v_mul_f64 v[76:77], v[60:61], s[42:43]
	;; [unrolled: 1-line block ×4, first 2 shown]
	v_fma_f64 v[24:25], v[30:31], s[12:13], -v[78:79]
	v_fma_f64 v[36:37], v[30:31], s[12:13], v[78:79]
	v_mul_f64 v[78:79], v[60:61], s[6:7]
	v_mul_f64 v[62:63], v[60:61], s[24:25]
	v_mul_f64 v[60:61], v[60:61], s[30:31]
	v_fma_f64 v[124:125], v[30:31], s[20:21], -v[72:73]
	v_fma_f64 v[72:73], v[30:31], s[20:21], v[72:73]
	v_fma_f64 v[42:43], v[30:31], s[14:15], -v[76:77]
	v_fma_f64 v[76:77], v[30:31], s[14:15], v[76:77]
	;; [unrolled: 2-line block ×7, first 2 shown]
	v_add_f64 v[60:61], v[4:5], v[124:125]
	v_add_f64 v[72:73], v[4:5], v[72:73]
	;; [unrolled: 1-line block ×16, first 2 shown]
	buffer_store_dword v176, off, s[60:63], 0 offset:284 ; 4-byte Folded Spill
	s_nop 0
	buffer_store_dword v177, off, s[60:63], 0 offset:288 ; 4-byte Folded Spill
	v_add_f64 v[142:143], v[4:5], v[235:236]
	v_add_f64 v[4:5], v[178:179], -v[34:35]
	v_mov_b32_e32 v178, v204
	v_mov_b32_e32 v179, v205
	v_mul_f64 v[196:197], v[4:5], s[42:43]
	v_mul_f64 v[235:236], v[4:5], s[22:23]
	v_fma_f64 v[198:199], v[144:145], s[14:15], -v[196:197]
	v_fma_f64 v[196:197], v[144:145], s[14:15], v[196:197]
	v_fma_f64 v[244:245], v[144:145], s[12:13], -v[235:236]
	v_fma_f64 v[235:236], v[144:145], s[12:13], v[235:236]
	v_add_f64 v[60:61], v[198:199], v[60:61]
	v_add_f64 v[72:73], v[196:197], v[72:73]
	v_mul_f64 v[196:197], v[4:5], s[36:37]
	v_add_f64 v[62:63], v[235:236], v[62:63]
	v_add_f64 v[68:69], v[244:245], v[68:69]
	v_fma_f64 v[198:199], v[144:145], s[4:5], -v[196:197]
	v_fma_f64 v[196:197], v[144:145], s[4:5], v[196:197]
	v_add_f64 v[42:43], v[198:199], v[42:43]
	v_add_f64 v[76:77], v[196:197], v[76:77]
	v_mul_f64 v[196:197], v[4:5], s[16:17]
	v_fma_f64 v[198:199], v[144:145], s[18:19], -v[196:197]
	v_fma_f64 v[196:197], v[144:145], s[18:19], v[196:197]
	v_add_f64 v[24:25], v[198:199], v[24:25]
	v_add_f64 v[36:37], v[196:197], v[36:37]
	v_mul_f64 v[196:197], v[4:5], s[30:31]
	;; [unrolled: 5-line block ×3, first 2 shown]
	v_mul_f64 v[198:199], v[4:5], s[50:51]
	v_mul_f64 v[4:5], v[4:5], s[38:39]
	v_fma_f64 v[240:241], v[144:145], s[26:27], -v[196:197]
	v_fma_f64 v[196:197], v[144:145], s[26:27], v[196:197]
	v_fma_f64 v[246:247], v[144:145], s[20:21], -v[4:5]
	v_fma_f64 v[4:5], v[144:145], s[20:21], v[4:5]
	;; [unrolled: 2-line block ×3, first 2 shown]
	v_add_f64 v[66:67], v[240:241], v[66:67]
	v_add_f64 v[78:79], v[196:197], v[78:79]
	;; [unrolled: 1-line block ×4, first 2 shown]
	v_add_f64 v[30:31], v[176:177], -v[50:51]
	buffer_load_dword v176, off, s[60:63], 0 offset:380 ; 4-byte Folded Reload
	buffer_load_dword v177, off, s[60:63], 0 offset:384 ; 4-byte Folded Reload
	s_nop 0
	buffer_store_dword v214, off, s[60:63], 0 offset:276 ; 4-byte Folded Spill
	s_nop 0
	buffer_store_dword v215, off, s[60:63], 0 offset:280 ; 4-byte Folded Spill
	v_add_f64 v[38:39], v[198:199], v[38:39]
	buffer_load_dword v40, off, s[60:63], 0 offset:372 ; 4-byte Folded Reload
	buffer_load_dword v41, off, s[60:63], 0 offset:376 ; 4-byte Folded Reload
	v_add_f64 v[18:19], v[242:243], v[18:19]
	buffer_store_dword v162, off, s[60:63], 0 offset:268 ; 4-byte Folded Spill
	s_nop 0
	buffer_store_dword v163, off, s[60:63], 0 offset:272 ; 4-byte Folded Spill
	buffer_store_dword v158, off, s[60:63], 0 offset:252 ; 4-byte Folded Spill
	s_nop 0
	buffer_store_dword v159, off, s[60:63], 0 offset:256 ; 4-byte Folded Spill
	v_mul_f64 v[196:197], v[30:31], s[48:49]
	v_mul_f64 v[235:236], v[30:31], s[36:37]
	buffer_store_dword v150, off, s[60:63], 0 offset:236 ; 4-byte Folded Spill
	s_nop 0
	buffer_store_dword v151, off, s[60:63], 0 offset:240 ; 4-byte Folded Spill
	buffer_store_dword v174, off, s[60:63], 0 offset:204 ; 4-byte Folded Spill
	s_nop 0
	buffer_store_dword v175, off, s[60:63], 0 offset:208 ; 4-byte Folded Spill
	s_waitcnt vmcnt(12)
	v_add_f64 v[144:145], v[176:177], v[44:45]
	v_fma_f64 v[198:199], v[144:145], s[12:13], -v[196:197]
	v_fma_f64 v[196:197], v[144:145], s[12:13], v[196:197]
	v_fma_f64 v[244:245], v[144:145], s[4:5], -v[235:236]
	v_fma_f64 v[235:236], v[144:145], s[4:5], v[235:236]
	v_add_f64 v[60:61], v[198:199], v[60:61]
	v_add_f64 v[72:73], v[196:197], v[72:73]
	v_mul_f64 v[196:197], v[30:31], s[16:17]
	v_add_f64 v[62:63], v[235:236], v[62:63]
	v_add_f64 v[68:69], v[244:245], v[68:69]
	v_fma_f64 v[198:199], v[144:145], s[18:19], -v[196:197]
	v_fma_f64 v[196:197], v[144:145], s[18:19], v[196:197]
	v_add_f64 v[42:43], v[198:199], v[42:43]
	v_add_f64 v[76:77], v[196:197], v[76:77]
	v_mul_f64 v[196:197], v[30:31], s[54:55]
	v_fma_f64 v[198:199], v[144:145], s[34:35], -v[196:197]
	v_fma_f64 v[196:197], v[144:145], s[34:35], v[196:197]
	v_add_f64 v[24:25], v[198:199], v[24:25]
	v_add_f64 v[36:37], v[196:197], v[36:37]
	v_mul_f64 v[196:197], v[30:31], s[50:51]
	;; [unrolled: 5-line block ×3, first 2 shown]
	v_mul_f64 v[198:199], v[30:31], s[28:29]
	v_mul_f64 v[30:31], v[30:31], s[24:25]
	v_fma_f64 v[240:241], v[144:145], s[14:15], -v[196:197]
	v_fma_f64 v[196:197], v[144:145], s[14:15], v[196:197]
	v_fma_f64 v[246:247], v[144:145], s[26:27], -v[30:31]
	v_fma_f64 v[30:31], v[144:145], s[26:27], v[30:31]
	;; [unrolled: 2-line block ×3, first 2 shown]
	s_waitcnt vmcnt(8)
	v_add_f64 v[144:145], v[40:41], v[132:133]
	v_add_f64 v[66:67], v[240:241], v[66:67]
	;; [unrolled: 1-line block ×5, first 2 shown]
	v_add_f64 v[30:31], v[214:215], -v[48:49]
	v_add_f64 v[38:39], v[198:199], v[38:39]
	v_add_f64 v[18:19], v[242:243], v[18:19]
	v_mul_f64 v[196:197], v[30:31], s[36:37]
	v_mul_f64 v[235:236], v[30:31], s[46:47]
	v_fma_f64 v[198:199], v[144:145], s[4:5], -v[196:197]
	v_fma_f64 v[196:197], v[144:145], s[4:5], v[196:197]
	v_fma_f64 v[244:245], v[144:145], s[18:19], -v[235:236]
	v_fma_f64 v[235:236], v[144:145], s[18:19], v[235:236]
	v_add_f64 v[60:61], v[198:199], v[60:61]
	v_add_f64 v[72:73], v[196:197], v[72:73]
	v_mul_f64 v[196:197], v[30:31], s[30:31]
	v_add_f64 v[62:63], v[235:236], v[62:63]
	v_add_f64 v[68:69], v[244:245], v[68:69]
	v_fma_f64 v[198:199], v[144:145], s[34:35], -v[196:197]
	v_fma_f64 v[196:197], v[144:145], s[34:35], v[196:197]
	v_add_f64 v[42:43], v[198:199], v[42:43]
	v_add_f64 v[76:77], v[196:197], v[76:77]
	v_mul_f64 v[196:197], v[30:31], s[50:51]
	v_fma_f64 v[198:199], v[144:145], s[10:11], -v[196:197]
	v_fma_f64 v[196:197], v[144:145], s[10:11], v[196:197]
	v_add_f64 v[24:25], v[198:199], v[24:25]
	v_add_f64 v[36:37], v[196:197], v[36:37]
	v_mul_f64 v[196:197], v[30:31], s[38:39]
	;; [unrolled: 5-line block ×3, first 2 shown]
	v_mul_f64 v[198:199], v[30:31], s[24:25]
	v_mul_f64 v[30:31], v[30:31], s[40:41]
	v_fma_f64 v[240:241], v[144:145], s[12:13], -v[196:197]
	v_fma_f64 v[196:197], v[144:145], s[12:13], v[196:197]
	v_fma_f64 v[246:247], v[144:145], s[14:15], -v[30:31]
	v_fma_f64 v[30:31], v[144:145], s[14:15], v[30:31]
	;; [unrolled: 2-line block ×3, first 2 shown]
	v_add_f64 v[144:145], v[164:165], v[54:55]
	buffer_store_dword v164, off, s[60:63], 0 offset:260 ; 4-byte Folded Spill
	s_nop 0
	buffer_store_dword v165, off, s[60:63], 0 offset:264 ; 4-byte Folded Spill
	v_add_f64 v[66:67], v[240:241], v[66:67]
	v_add_f64 v[78:79], v[196:197], v[78:79]
	;; [unrolled: 1-line block ×4, first 2 shown]
	v_add_f64 v[30:31], v[162:163], -v[80:81]
	v_add_f64 v[38:39], v[198:199], v[38:39]
	v_add_f64 v[18:19], v[242:243], v[18:19]
	v_mov_b32_e32 v163, v41
	v_mov_b32_e32 v162, v40
	v_mul_f64 v[196:197], v[30:31], s[6:7]
	v_mul_f64 v[235:236], v[30:31], s[28:29]
	v_fma_f64 v[198:199], v[144:145], s[10:11], -v[196:197]
	v_fma_f64 v[196:197], v[144:145], s[10:11], v[196:197]
	v_fma_f64 v[244:245], v[144:145], s[20:21], -v[235:236]
	v_fma_f64 v[235:236], v[144:145], s[20:21], v[235:236]
	v_add_f64 v[60:61], v[198:199], v[60:61]
	v_add_f64 v[72:73], v[196:197], v[72:73]
	v_mul_f64 v[196:197], v[30:31], s[52:53]
	v_add_f64 v[62:63], v[235:236], v[62:63]
	v_add_f64 v[68:69], v[244:245], v[68:69]
	v_fma_f64 v[198:199], v[144:145], s[26:27], -v[196:197]
	v_fma_f64 v[196:197], v[144:145], s[26:27], v[196:197]
	v_add_f64 v[42:43], v[198:199], v[42:43]
	v_add_f64 v[76:77], v[196:197], v[76:77]
	v_mul_f64 v[196:197], v[30:31], s[40:41]
	v_fma_f64 v[198:199], v[144:145], s[14:15], -v[196:197]
	v_fma_f64 v[196:197], v[144:145], s[14:15], v[196:197]
	v_add_f64 v[24:25], v[198:199], v[24:25]
	v_add_f64 v[36:37], v[196:197], v[36:37]
	v_mul_f64 v[196:197], v[30:31], s[48:49]
	;; [unrolled: 5-line block ×3, first 2 shown]
	v_mul_f64 v[198:199], v[30:31], s[44:45]
	v_mul_f64 v[30:31], v[30:31], s[16:17]
	v_fma_f64 v[240:241], v[144:145], s[34:35], -v[196:197]
	v_fma_f64 v[196:197], v[144:145], s[34:35], v[196:197]
	v_fma_f64 v[246:247], v[144:145], s[18:19], -v[30:31]
	v_fma_f64 v[30:31], v[144:145], s[18:19], v[30:31]
	;; [unrolled: 2-line block ×3, first 2 shown]
	v_add_f64 v[144:145], v[160:161], v[56:57]
	buffer_store_dword v160, off, s[60:63], 0 offset:244 ; 4-byte Folded Spill
	s_nop 0
	buffer_store_dword v161, off, s[60:63], 0 offset:248 ; 4-byte Folded Spill
	v_add_f64 v[66:67], v[240:241], v[66:67]
	v_add_f64 v[78:79], v[196:197], v[78:79]
	;; [unrolled: 1-line block ×4, first 2 shown]
	v_add_f64 v[30:31], v[158:159], -v[58:59]
	v_add_f64 v[38:39], v[198:199], v[38:39]
	v_add_f64 v[18:19], v[242:243], v[18:19]
	v_mul_f64 v[196:197], v[30:31], s[16:17]
	v_mul_f64 v[235:236], v[30:31], s[30:31]
	v_fma_f64 v[198:199], v[144:145], s[18:19], -v[196:197]
	v_fma_f64 v[196:197], v[144:145], s[18:19], v[196:197]
	v_fma_f64 v[244:245], v[144:145], s[34:35], -v[235:236]
	v_fma_f64 v[235:236], v[144:145], s[34:35], v[235:236]
	v_add_f64 v[60:61], v[198:199], v[60:61]
	v_add_f64 v[72:73], v[196:197], v[72:73]
	v_mul_f64 v[196:197], v[30:31], s[50:51]
	v_add_f64 v[62:63], v[235:236], v[62:63]
	v_add_f64 v[68:69], v[244:245], v[68:69]
	v_fma_f64 v[198:199], v[144:145], s[10:11], -v[196:197]
	v_fma_f64 v[196:197], v[144:145], s[10:11], v[196:197]
	v_add_f64 v[42:43], v[198:199], v[42:43]
	v_add_f64 v[76:77], v[196:197], v[76:77]
	v_mul_f64 v[196:197], v[30:31], s[28:29]
	v_fma_f64 v[198:199], v[144:145], s[20:21], -v[196:197]
	v_fma_f64 v[196:197], v[144:145], s[20:21], v[196:197]
	v_add_f64 v[24:25], v[198:199], v[24:25]
	v_add_f64 v[36:37], v[196:197], v[36:37]
	v_mul_f64 v[196:197], v[30:31], s[24:25]
	;; [unrolled: 5-line block ×3, first 2 shown]
	v_mul_f64 v[198:199], v[30:31], s[42:43]
	v_mul_f64 v[30:31], v[30:31], s[22:23]
	v_fma_f64 v[240:241], v[144:145], s[4:5], -v[196:197]
	v_fma_f64 v[196:197], v[144:145], s[4:5], v[196:197]
	v_fma_f64 v[246:247], v[144:145], s[12:13], -v[30:31]
	v_fma_f64 v[30:31], v[144:145], s[12:13], v[30:31]
	v_fma_f64 v[242:243], v[144:145], s[14:15], -v[198:199]
	v_fma_f64 v[198:199], v[144:145], s[14:15], v[198:199]
	v_add_f64 v[144:145], v[152:153], v[98:99]
	buffer_store_dword v152, off, s[60:63], 0 offset:228 ; 4-byte Folded Spill
	s_nop 0
	buffer_store_dword v153, off, s[60:63], 0 offset:232 ; 4-byte Folded Spill
	v_add_f64 v[66:67], v[240:241], v[66:67]
	v_add_f64 v[78:79], v[196:197], v[78:79]
	;; [unrolled: 1-line block ×4, first 2 shown]
	v_add_f64 v[30:31], v[150:151], -v[130:131]
	v_add_f64 v[38:39], v[198:199], v[38:39]
	v_add_f64 v[18:19], v[242:243], v[18:19]
	buffer_store_dword v146, off, s[60:63], 0 offset:188 ; 4-byte Folded Spill
	s_nop 0
	buffer_store_dword v147, off, s[60:63], 0 offset:192 ; 4-byte Folded Spill
	ds_write2_b64 v82, v[16:17], v[14:15] offset0:84 offset1:91
	ds_write2_b64 v82, v[12:13], v[10:11] offset0:98 offset1:105
	ds_write_b64 v82, v[8:9] offset:896
	buffer_load_dword v8, off, s[60:63], 0 offset:364 ; 4-byte Folded Reload
	buffer_load_dword v9, off, s[60:63], 0 offset:368 ; 4-byte Folded Reload
	v_mul_f64 v[196:197], v[30:31], s[24:25]
	v_fma_f64 v[198:199], v[144:145], s[26:27], -v[196:197]
	v_fma_f64 v[196:197], v[144:145], s[26:27], v[196:197]
	v_add_f64 v[60:61], v[198:199], v[60:61]
	v_add_f64 v[72:73], v[196:197], v[72:73]
	v_mul_f64 v[196:197], v[30:31], s[22:23]
	v_fma_f64 v[198:199], v[144:145], s[12:13], -v[196:197]
	v_fma_f64 v[196:197], v[144:145], s[12:13], v[196:197]
	v_add_f64 v[42:43], v[198:199], v[42:43]
	v_add_f64 v[76:77], v[196:197], v[76:77]
	v_mul_f64 v[196:197], v[30:31], s[36:37]
	v_fma_f64 v[198:199], v[144:145], s[4:5], -v[196:197]
	v_add_f64 v[198:199], v[198:199], v[24:25]
	v_fma_f64 v[24:25], v[144:145], s[4:5], v[196:197]
	v_add_f64 v[36:37], v[24:25], v[36:37]
	v_mul_f64 v[24:25], v[30:31], s[46:47]
	v_fma_f64 v[196:197], v[144:145], s[18:19], -v[24:25]
	v_fma_f64 v[24:25], v[144:145], s[18:19], v[24:25]
	s_waitcnt vmcnt(1)
	v_mad_u32_u24 v8, v8, s33, 0
	v_add_f64 v[196:197], v[196:197], v[26:27]
	v_add_f64 v[235:236], v[24:25], v[28:29]
	v_mul_f64 v[24:25], v[30:31], s[28:29]
	v_mul_f64 v[26:27], v[30:31], s[30:31]
	;; [unrolled: 1-line block ×4, first 2 shown]
	s_waitcnt vmcnt(0)
	v_lshlrev_b32_sdwa v9, v84, v9 dst_sel:DWORD dst_unused:UNUSED_PAD src0_sel:DWORD src1_sel:BYTE_0
	v_add3_u32 v83, v8, v9, v216
	v_fma_f64 v[240:241], v[144:145], s[20:21], -v[24:25]
	v_fma_f64 v[24:25], v[144:145], s[20:21], v[24:25]
	v_fma_f64 v[242:243], v[144:145], s[34:35], -v[26:27]
	v_fma_f64 v[246:247], v[144:145], s[10:11], -v[30:31]
	;; [unrolled: 1-line block ×3, first 2 shown]
	v_fma_f64 v[28:29], v[144:145], s[14:15], v[28:29]
	v_fma_f64 v[30:31], v[144:145], s[10:11], v[30:31]
	;; [unrolled: 1-line block ×3, first 2 shown]
	v_add_f64 v[66:67], v[240:241], v[66:67]
	v_add_f64 v[78:79], v[24:25], v[78:79]
	;; [unrolled: 1-line block ×4, first 2 shown]
	v_add_f64 v[246:247], v[174:175], -v[134:135]
	v_add_f64 v[68:69], v[244:245], v[68:69]
	v_add_f64 v[242:243], v[28:29], v[62:63]
	;; [unrolled: 1-line block ×4, first 2 shown]
	v_mul_f64 v[4:5], v[246:247], s[30:31]
	v_mul_f64 v[24:25], v[246:247], s[38:39]
	;; [unrolled: 1-line block ×3, first 2 shown]
	v_fma_f64 v[18:19], v[248:249], s[34:35], -v[4:5]
	v_fma_f64 v[4:5], v[248:249], s[34:35], v[4:5]
	v_fma_f64 v[26:27], v[248:249], s[20:21], -v[24:25]
	v_fma_f64 v[30:31], v[248:249], s[26:27], -v[28:29]
	v_fma_f64 v[28:29], v[248:249], s[26:27], v[28:29]
	v_fma_f64 v[24:25], v[248:249], s[20:21], v[24:25]
	v_add_f64 v[18:19], v[18:19], v[60:61]
	v_add_f64 v[4:5], v[4:5], v[72:73]
	;; [unrolled: 1-line block ×3, first 2 shown]
	v_mul_f64 v[42:43], v[246:247], s[16:17]
	v_add_f64 v[28:29], v[28:29], v[36:37]
	v_mul_f64 v[36:37], v[246:247], s[40:41]
	v_mul_f64 v[72:73], v[246:247], s[6:7]
	v_add_f64 v[24:25], v[24:25], v[76:77]
	v_add_f64 v[30:31], v[30:31], v[198:199]
	v_fma_f64 v[60:61], v[248:249], s[18:19], -v[42:43]
	v_fma_f64 v[42:43], v[248:249], s[18:19], v[42:43]
	v_fma_f64 v[38:39], v[248:249], s[14:15], -v[36:37]
	v_fma_f64 v[36:37], v[248:249], s[14:15], v[36:37]
	;; [unrolled: 2-line block ×3, first 2 shown]
	v_add_f64 v[60:61], v[60:61], v[66:67]
	v_mul_f64 v[66:67], v[246:247], s[22:23]
	v_add_f64 v[38:39], v[38:39], v[196:197]
	v_add_f64 v[36:37], v[36:37], v[235:236]
	;; [unrolled: 1-line block ×4, first 2 shown]
	v_mul_f64 v[72:73], v[246:247], s[44:45]
	v_add_f64 v[42:43], v[42:43], v[78:79]
	v_fma_f64 v[62:63], v[248:249], s[12:13], -v[66:67]
	v_fma_f64 v[66:67], v[248:249], s[12:13], v[66:67]
	v_fma_f64 v[76:77], v[248:249], s[4:5], -v[72:73]
	v_fma_f64 v[72:73], v[248:249], s[4:5], v[72:73]
	v_add_f64 v[62:63], v[62:63], v[144:145]
	v_add_f64 v[66:67], v[66:67], v[240:241]
	;; [unrolled: 1-line block ×9, first 2 shown]
	v_mov_b32_e32 v161, v55
	v_mov_b32_e32 v160, v54
	;; [unrolled: 1-line block ×4, first 2 shown]
	v_add_f64 v[76:77], v[76:77], v[152:153]
	v_add_f64 v[76:77], v[76:77], v[146:147]
	v_add_f64 v[76:77], v[76:77], v[100:101]
	v_add_f64 v[76:77], v[76:77], v[98:99]
	v_add_f64 v[76:77], v[76:77], v[56:57]
	v_add_f64 v[76:77], v[76:77], v[160:161]
	v_add_f64 v[76:77], v[76:77], v[54:55]
	v_add_f64 v[76:77], v[76:77], v[44:45]
	v_add_f64 v[76:77], v[76:77], v[32:33]
	v_add_f64 v[242:243], v[76:77], v[2:3]
	ds_write2_b64 v83, v[242:243], v[18:19] offset1:7
	ds_write2_b64 v83, v[26:27], v[30:31] offset0:14 offset1:21
	ds_write2_b64 v83, v[38:39], v[60:61] offset0:28 offset1:35
	ds_write2_b64 v83, v[62:63], v[68:69] offset0:42 offset1:49
	ds_write2_b64 v83, v[240:241], v[72:73] offset0:56 offset1:63
	ds_write2_b64 v83, v[235:236], v[66:67] offset0:70 offset1:77
	ds_write2_b64 v83, v[42:43], v[36:37] offset0:84 offset1:91
	ds_write2_b64 v83, v[28:29], v[24:25] offset0:98 offset1:105
	ds_write_b64 v83, v[4:5] offset:896
	s_and_saveexec_b64 s[56:57], s[0:1]
	s_cbranch_execz .LBB0_16
; %bb.15:
	v_mov_b32_e32 v159, v57
	v_mov_b32_e32 v158, v56
	;; [unrolled: 1-line block ×7, first 2 shown]
	buffer_load_dword v104, off, s[60:63], 0 offset:28 ; 4-byte Folded Reload
	buffer_load_dword v105, off, s[60:63], 0 offset:32 ; 4-byte Folded Reload
	;; [unrolled: 1-line block ×10, first 2 shown]
	v_mov_b32_e32 v152, v112
	buffer_load_dword v112, off, s[60:63], 0 offset:84 ; 4-byte Folded Reload
	buffer_load_dword v113, off, s[60:63], 0 offset:88 ; 4-byte Folded Reload
	;; [unrolled: 1-line block ×4, first 2 shown]
	v_mov_b32_e32 v111, v109
	v_mov_b32_e32 v110, v108
	;; [unrolled: 1-line block ×18, first 2 shown]
	s_waitcnt vmcnt(10)
	v_add_f64 v[16:17], v[104:105], v[106:107]
	s_waitcnt vmcnt(6)
	v_add_f64 v[42:43], v[4:5], -v[8:9]
	s_waitcnt vmcnt(2)
	v_add_f64 v[18:19], v[64:65], v[112:113]
	s_waitcnt vmcnt(0)
	v_add_f64 v[60:61], v[10:11], -v[108:109]
	buffer_load_dword v108, off, s[60:63], 0 offset:76 ; 4-byte Folded Reload
	buffer_load_dword v109, off, s[60:63], 0 offset:80 ; 4-byte Folded Reload
	;; [unrolled: 1-line block ×6, first 2 shown]
	v_mul_f64 v[8:9], v[42:43], s[44:45]
	v_mul_f64 v[10:11], v[60:61], s[6:7]
	v_fma_f64 v[4:5], v[16:17], s[4:5], v[8:9]
	v_fma_f64 v[8:9], v[16:17], s[4:5], -v[8:9]
	v_fma_f64 v[12:13], v[18:19], s[10:11], v[10:11]
	v_fma_f64 v[10:11], v[18:19], s[10:11], -v[10:11]
	s_waitcnt vmcnt(2)
	v_add_f64 v[24:25], v[108:109], v[118:119]
	s_waitcnt vmcnt(0)
	v_add_f64 v[62:63], v[14:15], -v[114:115]
	buffer_load_dword v114, off, s[60:63], 0 offset:100 ; 4-byte Folded Reload
	buffer_load_dword v115, off, s[60:63], 0 offset:104 ; 4-byte Folded Reload
	;; [unrolled: 1-line block ×14, first 2 shown]
	v_mul_f64 v[14:15], v[62:63], s[22:23]
	v_fma_f64 v[72:73], v[24:25], s[12:13], v[14:15]
	s_waitcnt vmcnt(10)
	v_add_f64 v[26:27], v[114:115], v[140:141]
	s_waitcnt vmcnt(8)
	v_add_f64 v[66:67], v[28:29], -v[74:75]
	buffer_load_dword v74, off, s[60:63], 0 offset:140 ; 4-byte Folded Reload
	buffer_load_dword v75, off, s[60:63], 0 offset:144 ; 4-byte Folded Reload
	s_waitcnt vmcnt(2)
	v_add_f64 v[68:69], v[30:31], -v[36:37]
	buffer_load_dword v36, off, s[60:63], 0 offset:132 ; 4-byte Folded Reload
	buffer_load_dword v37, off, s[60:63], 0 offset:136 ; 4-byte Folded Reload
	;; [unrolled: 1-line block ×10, first 2 shown]
	v_add_f64 v[28:29], v[116:117], v[136:137]
	v_mul_f64 v[76:77], v[66:67], s[16:17]
	v_mul_f64 v[124:125], v[68:69], s[40:41]
	v_fma_f64 v[78:79], v[26:27], s[18:19], v[76:77]
	v_fma_f64 v[142:143], v[28:29], s[14:15], v[124:125]
	s_waitcnt vmcnt(10)
	v_add_f64 v[30:31], v[74:75], v[146:147]
	s_waitcnt vmcnt(8)
	v_add_f64 v[240:241], v[36:37], -v[254:255]
	s_waitcnt vmcnt(6)
	v_add_f64 v[36:37], v[132:133], v[152:153]
	s_waitcnt vmcnt(2)
	v_add_f64 v[242:243], v[38:39], -v[70:71]
	buffer_load_dword v70, off, s[60:63], 0 offset:212 ; 4-byte Folded Reload
	buffer_load_dword v71, off, s[60:63], 0 offset:216 ; 4-byte Folded Reload
	s_waitcnt vmcnt(2)
	v_add_f64 v[38:39], v[85:86], v[130:131]
	v_mul_f64 v[144:145], v[240:241], s[24:25]
	v_mul_f64 v[198:199], v[242:243], s[38:39]
	v_fma_f64 v[196:197], v[30:31], s[26:27], v[144:145]
	v_fma_f64 v[235:236], v[36:37], s[20:21], v[198:199]
	s_waitcnt vmcnt(0)
	v_add_f64 v[244:245], v[70:71], -v[252:253]
	v_mul_f64 v[246:247], v[244:245], s[30:31]
	v_mul_f64 v[250:251], v[244:245], s[24:25]
	v_mul_f64 v[254:255], v[244:245], s[16:17]
	v_mul_f64 v[89:90], v[244:245], s[6:7]
	v_mul_f64 v[93:94], v[244:245], s[36:37]
	v_mul_f64 v[138:139], v[244:245], s[48:49]
	v_mul_f64 v[102:103], v[244:245], s[42:43]
	v_fma_f64 v[248:249], v[38:39], s[34:35], v[246:247]
	v_fma_f64 v[252:253], v[38:39], s[26:27], v[250:251]
	v_fma_f64 v[87:88], v[38:39], s[18:19], v[254:255]
	v_fma_f64 v[91:92], v[38:39], s[10:11], v[89:90]
	v_fma_f64 v[89:90], v[38:39], s[10:11], -v[89:90]
	v_fma_f64 v[95:96], v[38:39], s[4:5], v[93:94]
	v_fma_f64 v[93:94], v[38:39], s[4:5], -v[93:94]
	v_fma_f64 v[122:123], v[38:39], s[12:13], v[138:139]
	v_add_f64 v[248:249], v[238:239], v[248:249]
	v_add_f64 v[252:253], v[238:239], v[252:253]
	;; [unrolled: 1-line block ×9, first 2 shown]
	v_fma_f64 v[70:71], v[38:39], s[14:15], v[102:103]
	v_fma_f64 v[102:103], v[38:39], s[14:15], -v[102:103]
	v_add_f64 v[196:197], v[196:197], v[235:236]
	v_add_f64 v[70:71], v[238:239], v[70:71]
	;; [unrolled: 1-line block ×6, first 2 shown]
	v_fma_f64 v[78:79], v[36:37], s[20:21], -v[198:199]
	v_mul_f64 v[198:199], v[240:241], s[36:37]
	v_add_f64 v[12:13], v[12:13], v[72:73]
	v_fma_f64 v[72:73], v[28:29], s[14:15], -v[124:125]
	v_fma_f64 v[124:125], v[38:39], s[34:35], -v[246:247]
	v_mul_f64 v[246:247], v[242:243], s[22:23]
	v_fma_f64 v[235:236], v[30:31], s[4:5], v[198:199]
	v_add_f64 v[4:5], v[4:5], v[12:13]
	v_fma_f64 v[12:13], v[24:25], s[12:13], -v[14:15]
	v_add_f64 v[124:125], v[238:239], v[124:125]
	v_fma_f64 v[14:15], v[26:27], s[18:19], -v[76:77]
	v_fma_f64 v[76:77], v[30:31], s[26:27], -v[144:145]
	v_fma_f64 v[248:249], v[36:37], s[12:13], v[246:247]
	v_mul_f64 v[144:145], v[68:69], s[46:47]
	v_add_f64 v[78:79], v[78:79], v[124:125]
	v_mul_f64 v[124:125], v[66:67], s[28:29]
	v_add_f64 v[248:249], v[248:249], v[252:253]
	v_fma_f64 v[196:197], v[28:29], s[18:19], v[144:145]
	v_add_f64 v[76:77], v[76:77], v[78:79]
	v_fma_f64 v[142:143], v[26:27], s[20:21], v[124:125]
	v_add_f64 v[235:236], v[235:236], v[248:249]
	v_add_f64 v[72:73], v[72:73], v[76:77]
	v_mul_f64 v[76:77], v[62:63], s[30:31]
	v_add_f64 v[196:197], v[196:197], v[235:236]
	v_add_f64 v[14:15], v[14:15], v[72:73]
	v_fma_f64 v[78:79], v[24:25], s[34:35], v[76:77]
	v_add_f64 v[142:143], v[142:143], v[196:197]
	v_add_f64 v[12:13], v[12:13], v[14:15]
	v_mul_f64 v[14:15], v[60:61], s[40:41]
	v_add_f64 v[78:79], v[78:79], v[142:143]
	v_fma_f64 v[142:143], v[36:37], s[12:13], -v[246:247]
	v_mul_f64 v[246:247], v[240:241], s[28:29]
	v_add_f64 v[10:11], v[10:11], v[12:13]
	v_fma_f64 v[72:73], v[18:19], s[14:15], v[14:15]
	v_mul_f64 v[12:13], v[42:43], s[6:7]
	v_fma_f64 v[14:15], v[18:19], s[14:15], -v[14:15]
	v_fma_f64 v[248:249], v[30:31], s[20:21], v[246:247]
	v_add_f64 v[8:9], v[8:9], v[10:11]
	v_add_f64 v[72:73], v[72:73], v[78:79]
	v_fma_f64 v[78:79], v[28:29], s[18:19], -v[144:145]
	v_fma_f64 v[144:145], v[38:39], s[26:27], -v[250:251]
	v_fma_f64 v[10:11], v[16:17], s[10:11], v[12:13]
	v_mul_f64 v[250:251], v[242:243], s[50:51]
	v_fma_f64 v[12:13], v[16:17], s[10:11], -v[12:13]
	v_add_f64 v[144:145], v[238:239], v[144:145]
	v_add_f64 v[10:11], v[10:11], v[72:73]
	v_fma_f64 v[72:73], v[24:25], s[34:35], -v[76:77]
	v_fma_f64 v[76:77], v[26:27], s[20:21], -v[124:125]
	;; [unrolled: 1-line block ×3, first 2 shown]
	v_fma_f64 v[252:253], v[36:37], s[10:11], v[250:251]
	v_mul_f64 v[198:199], v[68:69], s[24:25]
	v_add_f64 v[142:143], v[142:143], v[144:145]
	v_mul_f64 v[144:145], v[66:67], s[44:45]
	v_add_f64 v[87:88], v[252:253], v[87:88]
	v_fma_f64 v[235:236], v[28:29], s[26:27], v[198:199]
	v_mul_f64 v[252:253], v[242:243], s[52:53]
	v_add_f64 v[124:125], v[124:125], v[142:143]
	v_fma_f64 v[196:197], v[26:27], s[4:5], v[144:145]
	v_add_f64 v[87:88], v[248:249], v[87:88]
	v_add_f64 v[78:79], v[78:79], v[124:125]
	v_mul_f64 v[124:125], v[62:63], s[42:43]
	v_add_f64 v[87:88], v[235:236], v[87:88]
	v_add_f64 v[76:77], v[76:77], v[78:79]
	v_fma_f64 v[142:143], v[24:25], s[14:15], v[124:125]
	v_add_f64 v[87:88], v[196:197], v[87:88]
	v_fma_f64 v[196:197], v[38:39], s[18:19], -v[254:255]
	v_fma_f64 v[254:255], v[36:37], s[26:27], v[252:253]
	v_add_f64 v[72:73], v[72:73], v[76:77]
	v_mul_f64 v[76:77], v[60:61], s[30:31]
	v_add_f64 v[87:88], v[142:143], v[87:88]
	v_add_f64 v[196:197], v[238:239], v[196:197]
	v_fma_f64 v[142:143], v[30:31], s[20:21], -v[246:247]
	v_add_f64 v[14:15], v[14:15], v[72:73]
	v_fma_f64 v[78:79], v[18:19], s[34:35], v[76:77]
	v_mul_f64 v[72:73], v[42:43], s[22:23]
	v_add_f64 v[91:92], v[254:255], v[91:92]
	v_fma_f64 v[76:77], v[18:19], s[34:35], -v[76:77]
	v_mul_f64 v[254:255], v[242:243], s[30:31]
	v_add_f64 v[12:13], v[12:13], v[14:15]
	v_add_f64 v[78:79], v[78:79], v[87:88]
	v_fma_f64 v[87:88], v[26:27], s[4:5], -v[144:145]
	v_fma_f64 v[144:145], v[36:37], s[10:11], -v[250:251]
	v_fma_f64 v[14:15], v[16:17], s[12:13], v[72:73]
	v_mul_f64 v[250:251], v[240:241], s[40:41]
	v_fma_f64 v[72:73], v[16:17], s[12:13], -v[72:73]
	v_add_f64 v[144:145], v[144:145], v[196:197]
	v_add_f64 v[14:15], v[14:15], v[78:79]
	v_fma_f64 v[78:79], v[24:25], s[14:15], -v[124:125]
	v_fma_f64 v[124:125], v[28:29], s[26:27], -v[198:199]
	v_mul_f64 v[198:199], v[68:69], s[48:49]
	v_fma_f64 v[248:249], v[30:31], s[14:15], v[250:251]
	v_add_f64 v[142:143], v[142:143], v[144:145]
	v_mul_f64 v[144:145], v[66:67], s[30:31]
	v_fma_f64 v[235:236], v[28:29], s[12:13], v[198:199]
	v_add_f64 v[91:92], v[248:249], v[91:92]
	v_add_f64 v[124:125], v[124:125], v[142:143]
	v_fma_f64 v[196:197], v[26:27], s[34:35], v[144:145]
	v_add_f64 v[91:92], v[235:236], v[91:92]
	v_add_f64 v[87:88], v[87:88], v[124:125]
	v_mul_f64 v[124:125], v[62:63], s[44:45]
	v_add_f64 v[91:92], v[196:197], v[91:92]
	v_add_f64 v[78:79], v[78:79], v[87:88]
	v_fma_f64 v[142:143], v[24:25], s[4:5], v[124:125]
	v_add_f64 v[76:77], v[76:77], v[78:79]
	v_mul_f64 v[78:79], v[60:61], s[28:29]
	v_add_f64 v[91:92], v[142:143], v[91:92]
	v_fma_f64 v[142:143], v[36:37], s[26:27], -v[252:253]
	v_fma_f64 v[252:253], v[36:37], s[34:35], v[254:255]
	v_add_f64 v[246:247], v[72:73], v[76:77]
	v_mul_f64 v[72:73], v[42:43], s[16:17]
	v_fma_f64 v[87:88], v[18:19], s[20:21], v[78:79]
	v_add_f64 v[89:90], v[142:143], v[89:90]
	v_add_f64 v[95:96], v[252:253], v[95:96]
	v_fma_f64 v[76:77], v[16:17], s[18:19], v[72:73]
	v_add_f64 v[87:88], v[87:88], v[91:92]
	v_fma_f64 v[91:92], v[28:29], s[12:13], -v[198:199]
	v_mul_f64 v[198:199], v[240:241], s[50:51]
	v_fma_f64 v[72:73], v[16:17], s[18:19], -v[72:73]
	v_add_f64 v[248:249], v[76:77], v[87:88]
	v_fma_f64 v[76:77], v[18:19], s[20:21], -v[78:79]
	v_fma_f64 v[78:79], v[24:25], s[4:5], -v[124:125]
	;; [unrolled: 1-line block ×4, first 2 shown]
	v_mul_f64 v[144:145], v[68:69], s[38:39]
	v_fma_f64 v[235:236], v[30:31], s[10:11], v[198:199]
	v_add_f64 v[89:90], v[124:125], v[89:90]
	v_mul_f64 v[124:125], v[66:67], s[48:49]
	v_fma_f64 v[196:197], v[28:29], s[20:21], v[144:145]
	v_add_f64 v[95:96], v[235:236], v[95:96]
	v_add_f64 v[89:90], v[91:92], v[89:90]
	v_fma_f64 v[142:143], v[26:27], s[12:13], v[124:125]
	v_add_f64 v[95:96], v[196:197], v[95:96]
	v_add_f64 v[87:88], v[87:88], v[89:90]
	v_mul_f64 v[89:90], v[62:63], s[24:25]
	v_add_f64 v[95:96], v[142:143], v[95:96]
	v_add_f64 v[78:79], v[78:79], v[87:88]
	v_fma_f64 v[91:92], v[24:25], s[26:27], v[89:90]
	v_add_f64 v[76:77], v[76:77], v[78:79]
	v_mul_f64 v[78:79], v[60:61], s[46:47]
	v_add_f64 v[91:92], v[91:92], v[95:96]
	v_fma_f64 v[95:96], v[36:37], s[34:35], -v[254:255]
	v_add_f64 v[250:251], v[72:73], v[76:77]
	v_mul_f64 v[72:73], v[42:43], s[40:41]
	v_fma_f64 v[87:88], v[18:19], s[18:19], v[78:79]
	v_add_f64 v[93:94], v[95:96], v[93:94]
	v_fma_f64 v[76:77], v[16:17], s[14:15], v[72:73]
	v_add_f64 v[87:88], v[87:88], v[91:92]
	v_fma_f64 v[91:92], v[30:31], s[10:11], -v[198:199]
	v_mul_f64 v[198:199], v[242:243], s[16:17]
	v_fma_f64 v[72:73], v[16:17], s[14:15], -v[72:73]
	v_add_f64 v[252:253], v[76:77], v[87:88]
	v_fma_f64 v[76:77], v[18:19], s[18:19], -v[78:79]
	v_fma_f64 v[78:79], v[24:25], s[26:27], -v[89:90]
	v_fma_f64 v[89:90], v[28:29], s[20:21], -v[144:145]
	v_add_f64 v[91:92], v[91:92], v[93:94]
	v_mul_f64 v[144:145], v[240:241], s[54:55]
	v_fma_f64 v[235:236], v[36:37], s[18:19], v[198:199]
	v_fma_f64 v[87:88], v[26:27], s[12:13], -v[124:125]
	v_mul_f64 v[124:125], v[68:69], s[50:51]
	v_mul_f64 v[93:94], v[66:67], s[40:41]
	v_add_f64 v[89:90], v[89:90], v[91:92]
	v_fma_f64 v[196:197], v[30:31], s[34:35], v[144:145]
	v_add_f64 v[122:123], v[235:236], v[122:123]
	v_fma_f64 v[142:143], v[28:29], s[10:11], v[124:125]
	v_fma_f64 v[95:96], v[26:27], s[14:15], v[93:94]
	v_add_f64 v[87:88], v[87:88], v[89:90]
	v_mul_f64 v[89:90], v[62:63], s[28:29]
	v_add_f64 v[122:123], v[196:197], v[122:123]
	v_mul_f64 v[196:197], v[242:243], s[36:37]
	v_add_f64 v[78:79], v[78:79], v[87:88]
	v_fma_f64 v[91:92], v[24:25], s[20:21], v[89:90]
	v_add_f64 v[122:123], v[142:143], v[122:123]
	v_mul_f64 v[142:143], v[240:241], s[16:17]
	v_add_f64 v[76:77], v[76:77], v[78:79]
	v_mul_f64 v[78:79], v[60:61], s[36:37]
	v_add_f64 v[95:96], v[95:96], v[122:123]
	v_add_f64 v[254:255], v[72:73], v[76:77]
	v_mul_f64 v[72:73], v[42:43], s[24:25]
	v_fma_f64 v[87:88], v[18:19], s[4:5], v[78:79]
	v_add_f64 v[91:92], v[91:92], v[95:96]
	v_fma_f64 v[95:96], v[38:39], s[12:13], -v[138:139]
	v_fma_f64 v[76:77], v[16:17], s[26:27], v[72:73]
	v_fma_f64 v[72:73], v[16:17], s[26:27], -v[72:73]
	v_add_f64 v[87:88], v[87:88], v[91:92]
	v_add_f64 v[95:96], v[238:239], v[95:96]
	v_fma_f64 v[91:92], v[30:31], s[34:35], -v[144:145]
	v_fma_f64 v[144:145], v[30:31], s[18:19], v[142:143]
	v_add_f64 v[235:236], v[76:77], v[87:88]
	v_fma_f64 v[87:88], v[26:27], s[14:15], -v[93:94]
	v_fma_f64 v[93:94], v[36:37], s[18:19], -v[198:199]
	v_fma_f64 v[198:199], v[36:37], s[4:5], v[196:197]
	v_fma_f64 v[76:77], v[18:19], s[4:5], -v[78:79]
	v_fma_f64 v[78:79], v[24:25], s[20:21], -v[89:90]
	v_fma_f64 v[89:90], v[28:29], s[10:11], -v[124:125]
	v_mul_f64 v[124:125], v[68:69], s[30:31]
	v_mul_f64 v[68:69], v[68:69], s[36:37]
	v_add_f64 v[93:94], v[93:94], v[95:96]
	v_add_f64 v[70:71], v[198:199], v[70:71]
	v_mul_f64 v[95:96], v[66:67], s[52:53]
	v_mul_f64 v[66:67], v[66:67], s[6:7]
	v_fma_f64 v[138:139], v[28:29], s[34:35], v[124:125]
	v_add_f64 v[91:92], v[91:92], v[93:94]
	v_add_f64 v[70:71], v[144:145], v[70:71]
	v_fma_f64 v[122:123], v[26:27], s[26:27], v[95:96]
	v_add_f64 v[89:90], v[89:90], v[91:92]
	v_mul_f64 v[91:92], v[62:63], s[50:51]
	v_add_f64 v[70:71], v[138:139], v[70:71]
	v_mul_f64 v[138:139], v[244:245], s[28:29]
	v_mul_f64 v[62:63], v[62:63], s[16:17]
	v_add_f64 v[87:88], v[87:88], v[89:90]
	v_fma_f64 v[93:94], v[24:25], s[10:11], v[91:92]
	v_add_f64 v[70:71], v[122:123], v[70:71]
	v_mul_f64 v[122:123], v[242:243], s[42:43]
	v_add_f64 v[78:79], v[78:79], v[87:88]
	v_mul_f64 v[87:88], v[60:61], s[22:23]
	v_add_f64 v[70:71], v[93:94], v[70:71]
	v_fma_f64 v[93:94], v[30:31], s[18:19], -v[142:143]
	v_fma_f64 v[142:143], v[38:39], s[20:21], v[138:139]
	v_fma_f64 v[38:39], v[38:39], s[20:21], -v[138:139]
	v_mul_f64 v[60:61], v[60:61], s[24:25]
	v_add_f64 v[76:77], v[76:77], v[78:79]
	v_fma_f64 v[89:90], v[18:19], s[12:13], v[87:88]
	v_mul_f64 v[78:79], v[42:43], s[38:39]
	v_add_f64 v[142:143], v[238:239], v[142:143]
	v_add_f64 v[38:39], v[238:239], v[38:39]
	;; [unrolled: 1-line block ×4, first 2 shown]
	v_fma_f64 v[89:90], v[26:27], s[26:27], -v[95:96]
	v_fma_f64 v[95:96], v[36:37], s[4:5], -v[196:197]
	v_fma_f64 v[76:77], v[16:17], s[20:21], v[78:79]
	v_add_f64 v[95:96], v[95:96], v[102:103]
	v_add_f64 v[76:77], v[76:77], v[70:71]
	v_fma_f64 v[70:71], v[16:17], s[20:21], -v[78:79]
	v_fma_f64 v[78:79], v[18:19], s[12:13], -v[87:88]
	;; [unrolled: 1-line block ×4, first 2 shown]
	v_fma_f64 v[124:125], v[36:37], s[14:15], v[122:123]
	v_fma_f64 v[36:37], v[36:37], s[14:15], -v[122:123]
	v_add_f64 v[93:94], v[93:94], v[95:96]
	v_mul_f64 v[95:96], v[240:241], s[48:49]
	v_add_f64 v[124:125], v[124:125], v[142:143]
	v_add_f64 v[36:37], v[36:37], v[38:39]
	v_add_f64 v[91:92], v[91:92], v[93:94]
	v_fma_f64 v[102:103], v[30:31], s[12:13], v[95:96]
	v_fma_f64 v[30:31], v[30:31], s[12:13], -v[95:96]
	v_fma_f64 v[93:94], v[28:29], s[4:5], v[68:69]
	v_fma_f64 v[28:29], v[28:29], s[4:5], -v[68:69]
	v_add_f64 v[89:90], v[89:90], v[91:92]
	v_fma_f64 v[91:92], v[26:27], s[10:11], v[66:67]
	v_add_f64 v[30:31], v[30:31], v[36:37]
	v_fma_f64 v[26:27], v[26:27], s[10:11], -v[66:67]
	v_add_f64 v[102:103], v[102:103], v[124:125]
	v_add_f64 v[87:88], v[87:88], v[89:90]
	v_fma_f64 v[89:90], v[24:25], s[18:19], v[62:63]
	v_add_f64 v[28:29], v[28:29], v[30:31]
	v_fma_f64 v[24:25], v[24:25], s[18:19], -v[62:63]
	v_add_f64 v[93:94], v[93:94], v[102:103]
	;; [unrolled: 5-line block ×3, first 2 shown]
	v_add_f64 v[78:79], v[70:71], v[78:79]
	v_mul_f64 v[70:71], v[42:43], s[30:31]
	v_add_f64 v[24:25], v[24:25], v[26:27]
	v_add_f64 v[89:90], v[89:90], v[91:92]
	v_fma_f64 v[42:43], v[16:17], s[34:35], v[70:71]
	v_fma_f64 v[16:17], v[16:17], s[34:35], -v[70:71]
	v_add_f64 v[18:19], v[18:19], v[24:25]
	buffer_load_dword v24, off, s[60:63], 0 offset:16 ; 4-byte Folded Reload
	v_add_f64 v[87:88], v[87:88], v[89:90]
	v_add_f64 v[16:17], v[16:17], v[18:19]
	;; [unrolled: 1-line block ×6, first 2 shown]
	v_mov_b32_e32 v74, v126
	v_mov_b32_e32 v75, v127
	v_add_f64 v[18:19], v[18:19], v[116:117]
	v_mov_b32_e32 v116, v146
	v_mov_b32_e32 v117, v147
	v_add_f64 v[18:19], v[18:19], v[114:115]
	;; [unrolled: 3-line block ×4, first 2 shown]
	v_add_f64 v[18:19], v[18:19], v[104:105]
	v_mov_b32_e32 v103, v130
	v_mov_b32_e32 v104, v131
	;; [unrolled: 1-line block ×6, first 2 shown]
	v_add_f64 v[18:19], v[18:19], v[106:107]
	v_add_f64 v[18:19], v[18:19], v[112:113]
	v_mov_b32_e32 v112, v152
	v_mov_b32_e32 v113, v153
	s_waitcnt vmcnt(0)
	v_lshlrev_b32_sdwa v24, v84, v24 dst_sel:DWORD dst_unused:UNUSED_PAD src0_sel:DWORD src1_sel:BYTE_0
	v_add3_u32 v24, 0, v24, v216
	v_add_u32_e32 v25, 0x800, v24
	v_add_f64 v[18:19], v[18:19], v[118:119]
	v_add_f64 v[18:19], v[18:19], v[140:141]
	;; [unrolled: 1-line block ×6, first 2 shown]
	ds_write2_b64 v25, v[18:19], v[16:17] offset0:220 offset1:227
	ds_write2_b64 v25, v[78:79], v[72:73] offset0:234 offset1:241
	;; [unrolled: 1-line block ×3, first 2 shown]
	v_add_u32_e32 v16, 0x1000, v24
	ds_write2_b64 v16, v[246:247], v[12:13] offset0:6 offset1:13
	ds_write2_b64 v16, v[8:9], v[4:5] offset0:20 offset1:27
	;; [unrolled: 1-line block ×4, first 2 shown]
	v_mov_b32_e32 v253, v101
	v_mov_b32_e32 v252, v100
	;; [unrolled: 1-line block ×10, first 2 shown]
	ds_write2_b64 v16, v[235:236], v[76:77] offset0:62 offset1:69
	ds_write_b64 v24, v[42:43] offset:4704
.LBB0_16:
	s_or_b64 exec, exec, s[56:57]
	buffer_load_dword v66, off, s[60:63], 0 offset:356 ; 4-byte Folded Reload
	buffer_load_dword v67, off, s[60:63], 0 offset:360 ; 4-byte Folded Reload
	;; [unrolled: 1-line block ×10, first 2 shown]
	v_add_f64 v[4:5], v[212:213], v[22:23]
	v_add_f64 v[8:9], v[20:21], -v[230:231]
	v_add_f64 v[68:69], v[218:219], -v[226:227]
	v_mul_f64 v[10:11], v[8:9], s[28:29]
	v_mul_f64 v[14:15], v[8:9], s[42:43]
	;; [unrolled: 1-line block ×6, first 2 shown]
	s_waitcnt vmcnt(8)
	v_add_f64 v[4:5], v[4:5], v[66:67]
	v_add_f64 v[66:67], v[66:67], v[228:229]
	s_waitcnt vmcnt(6)
	v_add_f64 v[4:5], v[4:5], v[40:41]
	s_waitcnt vmcnt(4)
	;; [unrolled: 2-line block ×4, first 2 shown]
	v_add_f64 v[4:5], v[4:5], v[52:53]
	v_add_f64 v[4:5], v[4:5], v[128:129]
	;; [unrolled: 1-line block ×12, first 2 shown]
	v_mul_f64 v[22:23], v[8:9], s[36:37]
	v_mul_f64 v[8:9], v[8:9], s[30:31]
	v_fma_f64 v[12:13], v[4:5], s[20:21], v[10:11]
	v_fma_f64 v[10:11], v[4:5], s[20:21], -v[10:11]
	v_fma_f64 v[16:17], v[4:5], s[14:15], v[14:15]
	v_fma_f64 v[14:15], v[4:5], s[14:15], -v[14:15]
	;; [unrolled: 2-line block ×8, first 2 shown]
	v_add_f64 v[10:11], v[212:213], v[10:11]
	v_add_f64 v[12:13], v[212:213], v[12:13]
	;; [unrolled: 1-line block ×8, first 2 shown]
	v_mul_f64 v[4:5], v[68:69], s[42:43]
	v_add_f64 v[24:25], v[212:213], v[24:25]
	v_add_f64 v[26:27], v[212:213], v[26:27]
	;; [unrolled: 1-line block ×7, first 2 shown]
	v_fma_f64 v[8:9], v[66:67], s[14:15], v[4:5]
	v_fma_f64 v[4:5], v[66:67], s[14:15], -v[4:5]
	v_add_f64 v[60:61], v[212:213], v[60:61]
	v_add_f64 v[70:71], v[8:9], v[12:13]
	;; [unrolled: 1-line block ×3, first 2 shown]
	v_mul_f64 v[4:5], v[68:69], s[36:37]
	v_mul_f64 v[12:13], v[68:69], s[38:39]
	v_fma_f64 v[8:9], v[66:67], s[4:5], v[4:5]
	v_fma_f64 v[4:5], v[66:67], s[4:5], -v[4:5]
	v_fma_f64 v[10:11], v[66:67], s[20:21], v[12:13]
	v_fma_f64 v[12:13], v[66:67], s[20:21], -v[12:13]
	v_add_f64 v[76:77], v[8:9], v[16:17]
	v_add_f64 v[78:79], v[4:5], v[14:15]
	v_mul_f64 v[4:5], v[68:69], s[16:17]
	v_add_f64 v[12:13], v[12:13], v[62:63]
	v_add_f64 v[10:11], v[10:11], v[60:61]
	v_fma_f64 v[8:9], v[66:67], s[18:19], v[4:5]
	v_fma_f64 v[4:5], v[66:67], s[18:19], -v[4:5]
	v_add_f64 v[20:21], v[8:9], v[20:21]
	v_add_f64 v[18:19], v[4:5], v[18:19]
	v_mul_f64 v[4:5], v[68:69], s[30:31]
	v_fma_f64 v[8:9], v[66:67], s[34:35], v[4:5]
	v_fma_f64 v[4:5], v[66:67], s[34:35], -v[4:5]
	v_add_f64 v[24:25], v[8:9], v[24:25]
	v_add_f64 v[22:23], v[4:5], v[22:23]
	v_mul_f64 v[4:5], v[68:69], s[52:53]
	;; [unrolled: 5-line block ×3, first 2 shown]
	v_fma_f64 v[8:9], v[66:67], s[10:11], v[4:5]
	v_fma_f64 v[4:5], v[66:67], s[10:11], -v[4:5]
	v_add_f64 v[14:15], v[8:9], v[36:37]
	v_add_f64 v[36:37], v[182:183], -v[222:223]
	v_add_f64 v[16:17], v[4:5], v[30:31]
	v_mul_f64 v[8:9], v[68:69], s[22:23]
	v_add_f64 v[30:31], v[40:41], v[224:225]
	v_mul_f64 v[62:63], v[36:37], s[54:55]
	v_fma_f64 v[4:5], v[66:67], s[12:13], v[8:9]
	v_fma_f64 v[8:9], v[66:67], s[12:13], -v[8:9]
	v_fma_f64 v[66:67], v[30:31], s[34:35], v[62:63]
	v_fma_f64 v[62:63], v[30:31], s[34:35], -v[62:63]
	v_add_f64 v[4:5], v[4:5], v[42:43]
	v_add_f64 v[8:9], v[8:9], v[38:39]
	v_mul_f64 v[38:39], v[36:37], s[48:49]
	v_mul_f64 v[42:43], v[36:37], s[16:17]
	v_add_f64 v[20:21], v[66:67], v[20:21]
	v_add_f64 v[18:19], v[62:63], v[18:19]
	v_mul_f64 v[62:63], v[36:37], s[50:51]
	v_fma_f64 v[40:41], v[30:31], s[12:13], v[38:39]
	v_fma_f64 v[38:39], v[30:31], s[12:13], -v[38:39]
	v_fma_f64 v[60:61], v[30:31], s[18:19], v[42:43]
	v_fma_f64 v[42:43], v[30:31], s[18:19], -v[42:43]
	;; [unrolled: 2-line block ×3, first 2 shown]
	v_add_f64 v[40:41], v[40:41], v[70:71]
	v_add_f64 v[38:39], v[38:39], v[72:73]
	;; [unrolled: 1-line block ×6, first 2 shown]
	v_mul_f64 v[62:63], v[36:37], s[40:41]
	v_fma_f64 v[66:67], v[30:31], s[14:15], v[62:63]
	v_fma_f64 v[62:63], v[30:31], s[14:15], -v[62:63]
	v_add_f64 v[28:29], v[66:67], v[28:29]
	v_add_f64 v[26:27], v[62:63], v[26:27]
	v_mul_f64 v[62:63], v[36:37], s[28:29]
	v_fma_f64 v[66:67], v[30:31], s[20:21], v[62:63]
	v_fma_f64 v[62:63], v[30:31], s[20:21], -v[62:63]
	v_add_f64 v[14:15], v[66:67], v[14:15]
	v_add_f64 v[16:17], v[62:63], v[16:17]
	v_mul_f64 v[62:63], v[36:37], s[36:37]
	v_mul_f64 v[36:37], v[36:37], s[24:25]
	v_fma_f64 v[66:67], v[30:31], s[4:5], v[62:63]
	v_fma_f64 v[62:63], v[30:31], s[4:5], -v[62:63]
	v_add_f64 v[4:5], v[66:67], v[4:5]
	v_add_f64 v[8:9], v[62:63], v[8:9]
	v_fma_f64 v[62:63], v[30:31], s[26:27], v[36:37]
	v_fma_f64 v[30:31], v[30:31], s[26:27], -v[36:37]
	v_add_f64 v[36:37], v[200:201], -v[208:209]
	v_add_f64 v[10:11], v[62:63], v[10:11]
	v_add_f64 v[12:13], v[30:31], v[12:13]
	v_add_f64 v[30:31], v[84:85], v[210:211]
	v_mul_f64 v[62:63], v[36:37], s[36:37]
	v_fma_f64 v[66:67], v[30:31], s[4:5], v[62:63]
	v_fma_f64 v[62:63], v[30:31], s[4:5], -v[62:63]
	v_add_f64 v[40:41], v[66:67], v[40:41]
	v_add_f64 v[38:39], v[62:63], v[38:39]
	v_mul_f64 v[62:63], v[36:37], s[30:31]
	v_fma_f64 v[66:67], v[30:31], s[34:35], v[62:63]
	v_fma_f64 v[62:63], v[30:31], s[34:35], -v[62:63]
	v_add_f64 v[60:61], v[66:67], v[60:61]
	v_add_f64 v[42:43], v[62:63], v[42:43]
	v_mul_f64 v[62:63], v[36:37], s[50:51]
	v_fma_f64 v[66:67], v[30:31], s[10:11], v[62:63]
	v_fma_f64 v[62:63], v[30:31], s[10:11], -v[62:63]
	v_add_f64 v[20:21], v[66:67], v[20:21]
	v_add_f64 v[18:19], v[62:63], v[18:19]
	v_mul_f64 v[62:63], v[36:37], s[38:39]
	v_fma_f64 v[66:67], v[30:31], s[20:21], v[62:63]
	v_fma_f64 v[62:63], v[30:31], s[20:21], -v[62:63]
	v_add_f64 v[24:25], v[66:67], v[24:25]
	v_add_f64 v[22:23], v[62:63], v[22:23]
	v_mul_f64 v[62:63], v[36:37], s[48:49]
	v_fma_f64 v[66:67], v[30:31], s[12:13], v[62:63]
	v_fma_f64 v[62:63], v[30:31], s[12:13], -v[62:63]
	v_add_f64 v[28:29], v[66:67], v[28:29]
	v_add_f64 v[26:27], v[62:63], v[26:27]
	v_mul_f64 v[62:63], v[36:37], s[24:25]
	v_fma_f64 v[66:67], v[30:31], s[26:27], v[62:63]
	v_fma_f64 v[62:63], v[30:31], s[26:27], -v[62:63]
	v_add_f64 v[14:15], v[66:67], v[14:15]
	v_add_f64 v[16:17], v[62:63], v[16:17]
	v_mul_f64 v[62:63], v[36:37], s[46:47]
	v_mul_f64 v[36:37], v[36:37], s[40:41]
	v_fma_f64 v[66:67], v[30:31], s[18:19], v[62:63]
	v_fma_f64 v[62:63], v[30:31], s[18:19], -v[62:63]
	v_add_f64 v[4:5], v[66:67], v[4:5]
	v_add_f64 v[8:9], v[62:63], v[8:9]
	v_fma_f64 v[62:63], v[30:31], s[14:15], v[36:37]
	v_fma_f64 v[30:31], v[30:31], s[14:15], -v[36:37]
	v_add_f64 v[36:37], v[186:187], -v[202:203]
	v_add_f64 v[10:11], v[62:63], v[10:11]
	v_add_f64 v[12:13], v[30:31], v[12:13]
	v_add_f64 v[30:31], v[64:65], v[206:207]
	v_mul_f64 v[62:63], v[36:37], s[6:7]
	v_fma_f64 v[66:67], v[30:31], s[10:11], v[62:63]
	v_fma_f64 v[62:63], v[30:31], s[10:11], -v[62:63]
	v_add_f64 v[40:41], v[66:67], v[40:41]
	v_add_f64 v[38:39], v[62:63], v[38:39]
	v_mul_f64 v[62:63], v[36:37], s[52:53]
	v_fma_f64 v[66:67], v[30:31], s[26:27], v[62:63]
	v_fma_f64 v[62:63], v[30:31], s[26:27], -v[62:63]
	v_add_f64 v[60:61], v[66:67], v[60:61]
	v_add_f64 v[42:43], v[62:63], v[42:43]
	v_mul_f64 v[62:63], v[36:37], s[40:41]
	v_fma_f64 v[66:67], v[30:31], s[14:15], v[62:63]
	v_fma_f64 v[62:63], v[30:31], s[14:15], -v[62:63]
	v_add_f64 v[20:21], v[66:67], v[20:21]
	v_add_f64 v[18:19], v[62:63], v[18:19]
	v_mul_f64 v[62:63], v[36:37], s[48:49]
	v_fma_f64 v[66:67], v[30:31], s[12:13], v[62:63]
	v_fma_f64 v[62:63], v[30:31], s[12:13], -v[62:63]
	v_add_f64 v[24:25], v[66:67], v[24:25]
	v_add_f64 v[22:23], v[62:63], v[22:23]
	v_mul_f64 v[62:63], v[36:37], s[30:31]
	v_fma_f64 v[66:67], v[30:31], s[34:35], v[62:63]
	v_fma_f64 v[62:63], v[30:31], s[34:35], -v[62:63]
	v_add_f64 v[28:29], v[66:67], v[28:29]
	v_add_f64 v[26:27], v[62:63], v[26:27]
	v_mul_f64 v[62:63], v[36:37], s[44:45]
	v_fma_f64 v[66:67], v[30:31], s[4:5], v[62:63]
	v_fma_f64 v[62:63], v[30:31], s[4:5], -v[62:63]
	v_add_f64 v[14:15], v[66:67], v[14:15]
	v_add_f64 v[16:17], v[62:63], v[16:17]
	v_mul_f64 v[62:63], v[36:37], s[28:29]
	v_mul_f64 v[36:37], v[36:37], s[16:17]
	v_fma_f64 v[66:67], v[30:31], s[20:21], v[62:63]
	v_fma_f64 v[62:63], v[30:31], s[20:21], -v[62:63]
	v_add_f64 v[4:5], v[66:67], v[4:5]
	v_add_f64 v[8:9], v[62:63], v[8:9]
	v_fma_f64 v[62:63], v[30:31], s[18:19], v[36:37]
	v_fma_f64 v[30:31], v[30:31], s[18:19], -v[36:37]
	v_add_f64 v[36:37], v[188:189], -v[192:193]
	v_add_f64 v[10:11], v[62:63], v[10:11]
	v_add_f64 v[12:13], v[30:31], v[12:13]
	v_add_f64 v[30:31], v[52:53], v[194:195]
	v_mul_f64 v[62:63], v[36:37], s[16:17]
	v_fma_f64 v[66:67], v[30:31], s[18:19], v[62:63]
	v_fma_f64 v[62:63], v[30:31], s[18:19], -v[62:63]
	v_add_f64 v[40:41], v[66:67], v[40:41]
	v_add_f64 v[38:39], v[62:63], v[38:39]
	v_mul_f64 v[62:63], v[36:37], s[50:51]
	v_fma_f64 v[66:67], v[30:31], s[10:11], v[62:63]
	v_fma_f64 v[62:63], v[30:31], s[10:11], -v[62:63]
	v_add_f64 v[60:61], v[66:67], v[60:61]
	v_add_f64 v[42:43], v[62:63], v[42:43]
	v_mul_f64 v[62:63], v[36:37], s[28:29]
	v_fma_f64 v[66:67], v[30:31], s[20:21], v[62:63]
	v_fma_f64 v[62:63], v[30:31], s[20:21], -v[62:63]
	v_add_f64 v[20:21], v[66:67], v[20:21]
	v_add_f64 v[18:19], v[62:63], v[18:19]
	v_mul_f64 v[62:63], v[36:37], s[24:25]
	v_fma_f64 v[66:67], v[30:31], s[26:27], v[62:63]
	v_fma_f64 v[62:63], v[30:31], s[26:27], -v[62:63]
	v_add_f64 v[24:25], v[66:67], v[24:25]
	v_add_f64 v[22:23], v[62:63], v[22:23]
	v_mul_f64 v[62:63], v[36:37], s[44:45]
	v_fma_f64 v[66:67], v[30:31], s[4:5], v[62:63]
	v_fma_f64 v[62:63], v[30:31], s[4:5], -v[62:63]
	v_add_f64 v[28:29], v[66:67], v[28:29]
	v_add_f64 v[26:27], v[62:63], v[26:27]
	v_mul_f64 v[62:63], v[36:37], s[42:43]
	v_fma_f64 v[66:67], v[30:31], s[14:15], v[62:63]
	v_fma_f64 v[62:63], v[30:31], s[14:15], -v[62:63]
	v_add_f64 v[14:15], v[66:67], v[14:15]
	v_add_f64 v[16:17], v[62:63], v[16:17]
	v_mul_f64 v[62:63], v[36:37], s[30:31]
	v_mul_f64 v[36:37], v[36:37], s[22:23]
	v_fma_f64 v[66:67], v[30:31], s[34:35], v[62:63]
	v_fma_f64 v[62:63], v[30:31], s[34:35], -v[62:63]
	v_add_f64 v[4:5], v[66:67], v[4:5]
	v_add_f64 v[8:9], v[62:63], v[8:9]
	v_fma_f64 v[62:63], v[30:31], s[12:13], v[36:37]
	v_fma_f64 v[30:31], v[30:31], s[12:13], -v[36:37]
	buffer_load_dword v36, off, s[60:63], 0 offset:316 ; 4-byte Folded Reload
	buffer_load_dword v37, off, s[60:63], 0 offset:320 ; 4-byte Folded Reload
	v_add_f64 v[10:11], v[62:63], v[10:11]
	v_add_f64 v[12:13], v[30:31], v[12:13]
	;; [unrolled: 1-line block ×3, first 2 shown]
	s_waitcnt vmcnt(0)
	v_add_f64 v[36:37], v[36:37], -v[172:173]
	v_mul_f64 v[62:63], v[36:37], s[24:25]
	v_fma_f64 v[66:67], v[30:31], s[26:27], v[62:63]
	v_fma_f64 v[62:63], v[30:31], s[26:27], -v[62:63]
	v_add_f64 v[40:41], v[66:67], v[40:41]
	v_add_f64 v[38:39], v[62:63], v[38:39]
	v_mul_f64 v[62:63], v[36:37], s[22:23]
	v_fma_f64 v[66:67], v[30:31], s[12:13], v[62:63]
	v_fma_f64 v[62:63], v[30:31], s[12:13], -v[62:63]
	v_add_f64 v[60:61], v[66:67], v[60:61]
	v_add_f64 v[42:43], v[62:63], v[42:43]
	;; [unrolled: 5-line block ×6, first 2 shown]
	v_mul_f64 v[62:63], v[36:37], s[40:41]
	v_mul_f64 v[36:37], v[36:37], s[6:7]
	v_fma_f64 v[66:67], v[30:31], s[14:15], v[62:63]
	v_fma_f64 v[62:63], v[30:31], s[14:15], -v[62:63]
	v_add_f64 v[4:5], v[66:67], v[4:5]
	v_add_f64 v[8:9], v[62:63], v[8:9]
	v_fma_f64 v[62:63], v[30:31], s[10:11], v[36:37]
	v_fma_f64 v[30:31], v[30:31], s[10:11], -v[36:37]
	v_add_f64 v[36:37], v[156:157], -v[168:169]
	v_add_f64 v[10:11], v[62:63], v[10:11]
	v_add_f64 v[12:13], v[30:31], v[12:13]
	;; [unrolled: 1-line block ×3, first 2 shown]
	v_mul_f64 v[62:63], v[36:37], s[30:31]
	v_fma_f64 v[66:67], v[30:31], s[34:35], v[62:63]
	v_add_f64 v[154:155], v[66:67], v[40:41]
	v_fma_f64 v[40:41], v[30:31], s[34:35], -v[62:63]
	v_add_f64 v[148:149], v[40:41], v[38:39]
	v_mul_f64 v[38:39], v[36:37], s[38:39]
	v_fma_f64 v[40:41], v[30:31], s[20:21], v[38:39]
	v_fma_f64 v[38:39], v[30:31], s[20:21], -v[38:39]
	v_add_f64 v[166:167], v[40:41], v[60:61]
	v_add_f64 v[156:157], v[38:39], v[42:43]
	v_mul_f64 v[38:39], v[36:37], s[24:25]
	v_fma_f64 v[40:41], v[30:31], s[26:27], v[38:39]
	v_add_f64 v[170:171], v[40:41], v[20:21]
	v_fma_f64 v[20:21], v[30:31], s[26:27], -v[38:39]
	v_add_f64 v[168:169], v[20:21], v[18:19]
	v_mul_f64 v[18:19], v[36:37], s[40:41]
	v_fma_f64 v[20:21], v[30:31], s[14:15], v[18:19]
	v_fma_f64 v[18:19], v[30:31], s[14:15], -v[18:19]
	v_add_f64 v[186:187], v[20:21], v[24:25]
	v_add_f64 v[172:173], v[18:19], v[22:23]
	v_mul_f64 v[18:19], v[36:37], s[16:17]
	v_fma_f64 v[20:21], v[30:31], s[18:19], v[18:19]
	v_fma_f64 v[18:19], v[30:31], s[18:19], -v[18:19]
	v_add_f64 v[190:191], v[20:21], v[28:29]
	v_add_f64 v[188:189], v[18:19], v[26:27]
	v_mul_f64 v[18:19], v[36:37], s[22:23]
	v_fma_f64 v[20:21], v[30:31], s[12:13], v[18:19]
	v_add_f64 v[192:193], v[20:21], v[14:15]
	v_fma_f64 v[14:15], v[30:31], s[12:13], -v[18:19]
	v_add_f64 v[194:195], v[14:15], v[16:17]
	v_mul_f64 v[14:15], v[36:37], s[6:7]
	v_fma_f64 v[16:17], v[30:31], s[10:11], v[14:15]
	v_add_f64 v[196:197], v[16:17], v[4:5]
	v_fma_f64 v[4:5], v[30:31], s[10:11], -v[14:15]
	v_add_f64 v[198:199], v[4:5], v[8:9]
	v_mul_f64 v[4:5], v[36:37], s[44:45]
	v_fma_f64 v[8:9], v[30:31], s[4:5], v[4:5]
	v_fma_f64 v[4:5], v[30:31], s[4:5], -v[4:5]
	v_add_f64 v[200:201], v[8:9], v[10:11]
	buffer_load_dword v8, off, s[60:63], 0 offset:308 ; 4-byte Folded Reload
	buffer_load_dword v9, off, s[60:63], 0 offset:312 ; 4-byte Folded Reload
	;; [unrolled: 1-line block ×16, first 2 shown]
	v_add_f64 v[202:203], v[4:5], v[12:13]
	s_waitcnt vmcnt(14)
	v_add_f64 v[4:5], v[0:1], v[8:9]
	s_waitcnt vmcnt(12)
	;; [unrolled: 2-line block ×8, first 2 shown]
	v_add_f64 v[4:5], v[4:5], v[85:86]
	v_add_f64 v[4:5], v[4:5], v[134:135]
	;; [unrolled: 1-line block ×10, first 2 shown]
	buffer_load_dword v6, off, s[60:63], 0 offset:300 ; 4-byte Folded Reload
	buffer_load_dword v7, off, s[60:63], 0 offset:304 ; 4-byte Folded Reload
	s_waitcnt vmcnt(0)
	v_add_f64 v[2:3], v[6:7], -v[2:3]
	v_mul_f64 v[6:7], v[2:3], s[28:29]
	v_mul_f64 v[10:11], v[2:3], s[42:43]
	;; [unrolled: 1-line block ×8, first 2 shown]
	v_fma_f64 v[8:9], v[4:5], s[20:21], v[6:7]
	v_fma_f64 v[6:7], v[4:5], s[20:21], -v[6:7]
	v_fma_f64 v[12:13], v[4:5], s[14:15], v[10:11]
	v_fma_f64 v[10:11], v[4:5], s[14:15], -v[10:11]
	;; [unrolled: 2-line block ×8, first 2 shown]
	v_add_f64 v[4:5], v[178:179], -v[32:33]
	v_add_f64 v[8:9], v[0:1], v[8:9]
	v_add_f64 v[6:7], v[0:1], v[6:7]
	v_add_f64 v[12:13], v[0:1], v[12:13]
	v_add_f64 v[10:11], v[0:1], v[10:11]
	v_add_f64 v[16:17], v[0:1], v[16:17]
	v_add_f64 v[14:15], v[0:1], v[14:15]
	v_add_f64 v[20:21], v[0:1], v[20:21]
	v_add_f64 v[18:19], v[0:1], v[18:19]
	v_add_f64 v[24:25], v[0:1], v[24:25]
	v_add_f64 v[22:23], v[0:1], v[22:23]
	v_add_f64 v[28:29], v[0:1], v[28:29]
	v_add_f64 v[26:27], v[0:1], v[26:27]
	v_add_f64 v[36:37], v[0:1], v[36:37]
	v_add_f64 v[30:31], v[0:1], v[30:31]
	v_add_f64 v[38:39], v[0:1], v[38:39]
	v_add_f64 v[0:1], v[0:1], v[2:3]
	v_add_f64 v[2:3], v[66:67], v[34:35]
	v_mul_f64 v[32:33], v[4:5], s[42:43]
	v_add_u32_e32 v66, 0x1000, v237
	v_fma_f64 v[34:35], v[2:3], s[14:15], v[32:33]
	v_fma_f64 v[32:33], v[2:3], s[14:15], -v[32:33]
	v_add_f64 v[8:9], v[34:35], v[8:9]
	v_add_f64 v[6:7], v[32:33], v[6:7]
	v_mul_f64 v[32:33], v[4:5], s[36:37]
	v_fma_f64 v[34:35], v[2:3], s[4:5], v[32:33]
	v_fma_f64 v[32:33], v[2:3], s[4:5], -v[32:33]
	v_add_f64 v[12:13], v[34:35], v[12:13]
	v_add_f64 v[10:11], v[32:33], v[10:11]
	v_mul_f64 v[32:33], v[4:5], s[16:17]
	;; [unrolled: 5-line block ×6, first 2 shown]
	v_mul_f64 v[4:5], v[4:5], s[38:39]
	v_fma_f64 v[34:35], v[2:3], s[12:13], v[32:33]
	v_fma_f64 v[32:33], v[2:3], s[12:13], -v[32:33]
	v_add_f64 v[34:35], v[34:35], v[36:37]
	v_add_f64 v[30:31], v[32:33], v[30:31]
	v_fma_f64 v[32:33], v[2:3], s[20:21], v[4:5]
	v_fma_f64 v[2:3], v[2:3], s[20:21], -v[4:5]
	v_add_f64 v[4:5], v[176:177], -v[44:45]
	v_add_f64 v[32:33], v[32:33], v[38:39]
	v_add_f64 v[0:1], v[2:3], v[0:1]
	;; [unrolled: 1-line block ×3, first 2 shown]
	v_mul_f64 v[36:37], v[4:5], s[48:49]
	v_fma_f64 v[38:39], v[2:3], s[12:13], v[36:37]
	v_fma_f64 v[36:37], v[2:3], s[12:13], -v[36:37]
	v_add_f64 v[8:9], v[38:39], v[8:9]
	v_add_f64 v[6:7], v[36:37], v[6:7]
	v_mul_f64 v[36:37], v[4:5], s[16:17]
	v_fma_f64 v[38:39], v[2:3], s[18:19], v[36:37]
	v_fma_f64 v[36:37], v[2:3], s[18:19], -v[36:37]
	v_add_f64 v[12:13], v[38:39], v[12:13]
	v_add_f64 v[10:11], v[36:37], v[10:11]
	;; [unrolled: 5-line block ×6, first 2 shown]
	v_mul_f64 v[36:37], v[4:5], s[36:37]
	v_mul_f64 v[4:5], v[4:5], s[24:25]
	v_fma_f64 v[38:39], v[2:3], s[4:5], v[36:37]
	v_fma_f64 v[36:37], v[2:3], s[4:5], -v[36:37]
	v_add_f64 v[34:35], v[38:39], v[34:35]
	v_add_f64 v[30:31], v[36:37], v[30:31]
	v_fma_f64 v[36:37], v[2:3], s[26:27], v[4:5]
	v_fma_f64 v[2:3], v[2:3], s[26:27], -v[4:5]
	v_add_f64 v[4:5], v[162:163], -v[54:55]
	v_add_f64 v[32:33], v[36:37], v[32:33]
	v_add_f64 v[0:1], v[2:3], v[0:1]
	v_add_f64 v[2:3], v[62:63], v[48:49]
	v_mul_f64 v[36:37], v[4:5], s[36:37]
	v_fma_f64 v[38:39], v[2:3], s[4:5], v[36:37]
	v_fma_f64 v[36:37], v[2:3], s[4:5], -v[36:37]
	v_add_f64 v[8:9], v[38:39], v[8:9]
	v_add_f64 v[6:7], v[36:37], v[6:7]
	v_mul_f64 v[36:37], v[4:5], s[30:31]
	v_fma_f64 v[38:39], v[2:3], s[34:35], v[36:37]
	v_fma_f64 v[36:37], v[2:3], s[34:35], -v[36:37]
	v_add_f64 v[12:13], v[38:39], v[12:13]
	v_add_f64 v[10:11], v[36:37], v[10:11]
	;; [unrolled: 5-line block ×6, first 2 shown]
	v_mul_f64 v[36:37], v[4:5], s[46:47]
	v_mul_f64 v[4:5], v[4:5], s[40:41]
	v_fma_f64 v[38:39], v[2:3], s[18:19], v[36:37]
	v_fma_f64 v[36:37], v[2:3], s[18:19], -v[36:37]
	v_add_f64 v[34:35], v[38:39], v[34:35]
	v_add_f64 v[30:31], v[36:37], v[30:31]
	v_fma_f64 v[36:37], v[2:3], s[14:15], v[4:5]
	v_fma_f64 v[2:3], v[2:3], s[14:15], -v[4:5]
	buffer_load_dword v4, off, s[60:63], 0 offset:260 ; 4-byte Folded Reload
	buffer_load_dword v5, off, s[60:63], 0 offset:264 ; 4-byte Folded Reload
	v_add_f64 v[32:33], v[36:37], v[32:33]
	v_add_f64 v[0:1], v[2:3], v[0:1]
	;; [unrolled: 1-line block ×3, first 2 shown]
	v_add_u32_e32 v60, 0x800, v237
	s_waitcnt vmcnt(0)
	v_add_f64 v[4:5], v[4:5], -v[160:161]
	v_mul_f64 v[36:37], v[4:5], s[6:7]
	v_fma_f64 v[38:39], v[2:3], s[10:11], v[36:37]
	v_fma_f64 v[36:37], v[2:3], s[10:11], -v[36:37]
	v_add_f64 v[8:9], v[38:39], v[8:9]
	v_add_f64 v[6:7], v[36:37], v[6:7]
	v_mul_f64 v[36:37], v[4:5], s[52:53]
	v_fma_f64 v[38:39], v[2:3], s[26:27], v[36:37]
	v_fma_f64 v[36:37], v[2:3], s[26:27], -v[36:37]
	v_add_f64 v[12:13], v[38:39], v[12:13]
	v_add_f64 v[10:11], v[36:37], v[10:11]
	;; [unrolled: 5-line block ×6, first 2 shown]
	v_mul_f64 v[36:37], v[4:5], s[28:29]
	v_mul_f64 v[4:5], v[4:5], s[16:17]
	v_fma_f64 v[38:39], v[2:3], s[20:21], v[36:37]
	v_fma_f64 v[36:37], v[2:3], s[20:21], -v[36:37]
	v_add_f64 v[34:35], v[38:39], v[34:35]
	v_add_f64 v[30:31], v[36:37], v[30:31]
	v_fma_f64 v[36:37], v[2:3], s[18:19], v[4:5]
	v_fma_f64 v[2:3], v[2:3], s[18:19], -v[4:5]
	buffer_load_dword v4, off, s[60:63], 0 offset:244 ; 4-byte Folded Reload
	buffer_load_dword v5, off, s[60:63], 0 offset:248 ; 4-byte Folded Reload
	v_add_f64 v[32:33], v[36:37], v[32:33]
	v_add_f64 v[0:1], v[2:3], v[0:1]
	;; [unrolled: 1-line block ×3, first 2 shown]
	s_waitcnt vmcnt(0)
	v_add_f64 v[4:5], v[4:5], -v[56:57]
	v_mul_f64 v[36:37], v[4:5], s[16:17]
	v_fma_f64 v[38:39], v[2:3], s[18:19], v[36:37]
	v_fma_f64 v[36:37], v[2:3], s[18:19], -v[36:37]
	v_add_f64 v[8:9], v[38:39], v[8:9]
	v_add_f64 v[6:7], v[36:37], v[6:7]
	v_mul_f64 v[36:37], v[4:5], s[50:51]
	v_fma_f64 v[38:39], v[2:3], s[10:11], v[36:37]
	v_fma_f64 v[36:37], v[2:3], s[10:11], -v[36:37]
	v_add_f64 v[12:13], v[38:39], v[12:13]
	v_add_f64 v[10:11], v[36:37], v[10:11]
	;; [unrolled: 5-line block ×6, first 2 shown]
	v_mul_f64 v[36:37], v[4:5], s[30:31]
	v_mul_f64 v[4:5], v[4:5], s[22:23]
	v_fma_f64 v[38:39], v[2:3], s[34:35], v[36:37]
	v_fma_f64 v[36:37], v[2:3], s[34:35], -v[36:37]
	v_add_f64 v[34:35], v[38:39], v[34:35]
	v_add_f64 v[30:31], v[36:37], v[30:31]
	v_fma_f64 v[36:37], v[2:3], s[12:13], v[4:5]
	v_fma_f64 v[2:3], v[2:3], s[12:13], -v[4:5]
	buffer_load_dword v4, off, s[60:63], 0 offset:228 ; 4-byte Folded Reload
	buffer_load_dword v5, off, s[60:63], 0 offset:232 ; 4-byte Folded Reload
	v_add_f64 v[32:33], v[36:37], v[32:33]
	v_add_f64 v[0:1], v[2:3], v[0:1]
	;; [unrolled: 1-line block ×3, first 2 shown]
	s_waitcnt vmcnt(0)
	v_add_f64 v[4:5], v[4:5], -v[98:99]
	v_mul_f64 v[36:37], v[4:5], s[24:25]
	v_fma_f64 v[38:39], v[2:3], s[26:27], v[36:37]
	v_fma_f64 v[36:37], v[2:3], s[26:27], -v[36:37]
	v_add_f64 v[8:9], v[38:39], v[8:9]
	v_add_f64 v[6:7], v[36:37], v[6:7]
	v_mul_f64 v[36:37], v[4:5], s[22:23]
	v_fma_f64 v[38:39], v[2:3], s[12:13], v[36:37]
	v_fma_f64 v[36:37], v[2:3], s[12:13], -v[36:37]
	v_add_f64 v[12:13], v[38:39], v[12:13]
	v_add_f64 v[10:11], v[36:37], v[10:11]
	;; [unrolled: 5-line block ×6, first 2 shown]
	v_mul_f64 v[36:37], v[4:5], s[40:41]
	v_mul_f64 v[4:5], v[4:5], s[6:7]
	v_fma_f64 v[38:39], v[2:3], s[14:15], v[36:37]
	v_fma_f64 v[36:37], v[2:3], s[14:15], -v[36:37]
	v_add_f64 v[34:35], v[38:39], v[34:35]
	v_add_f64 v[30:31], v[36:37], v[30:31]
	v_fma_f64 v[36:37], v[2:3], s[10:11], v[4:5]
	v_fma_f64 v[2:3], v[2:3], s[10:11], -v[4:5]
	buffer_load_dword v4, off, s[60:63], 0 offset:188 ; 4-byte Folded Reload
	buffer_load_dword v5, off, s[60:63], 0 offset:192 ; 4-byte Folded Reload
	s_waitcnt lgkmcnt(0)
	; wave barrier
	s_waitcnt lgkmcnt(0)
	v_add_f64 v[32:33], v[36:37], v[32:33]
	v_add_f64 v[0:1], v[2:3], v[0:1]
	;; [unrolled: 1-line block ×3, first 2 shown]
	s_waitcnt vmcnt(0)
	v_add_f64 v[4:5], v[4:5], -v[100:101]
	v_mul_f64 v[36:37], v[4:5], s[30:31]
	v_fma_f64 v[38:39], v[2:3], s[34:35], v[36:37]
	v_add_f64 v[70:71], v[38:39], v[8:9]
	v_fma_f64 v[8:9], v[2:3], s[34:35], -v[36:37]
	v_add_f64 v[72:73], v[8:9], v[6:7]
	v_mul_f64 v[6:7], v[4:5], s[38:39]
	v_fma_f64 v[8:9], v[2:3], s[20:21], v[6:7]
	v_fma_f64 v[6:7], v[2:3], s[20:21], -v[6:7]
	v_add_f64 v[76:77], v[8:9], v[12:13]
	v_add_f64 v[78:79], v[6:7], v[10:11]
	v_mul_f64 v[6:7], v[4:5], s[24:25]
	v_fma_f64 v[8:9], v[2:3], s[26:27], v[6:7]
	v_fma_f64 v[6:7], v[2:3], s[26:27], -v[6:7]
	v_add_f64 v[87:88], v[8:9], v[16:17]
	;; [unrolled: 5-line block ×3, first 2 shown]
	v_add_f64 v[93:94], v[6:7], v[18:19]
	v_mul_f64 v[6:7], v[4:5], s[16:17]
	v_add_u32_e32 v20, 0x400, v237
	v_fma_f64 v[8:9], v[2:3], s[18:19], v[6:7]
	v_fma_f64 v[6:7], v[2:3], s[18:19], -v[6:7]
	v_add_f64 v[95:96], v[8:9], v[24:25]
	v_add_f64 v[97:98], v[6:7], v[22:23]
	v_mul_f64 v[6:7], v[4:5], s[22:23]
	v_fma_f64 v[8:9], v[2:3], s[12:13], v[6:7]
	v_fma_f64 v[6:7], v[2:3], s[12:13], -v[6:7]
	v_add_f64 v[99:100], v[8:9], v[28:29]
	v_add_f64 v[101:102], v[6:7], v[26:27]
	v_mul_f64 v[6:7], v[4:5], s[6:7]
	v_mul_f64 v[4:5], v[4:5], s[44:45]
	v_fma_f64 v[8:9], v[2:3], s[10:11], v[6:7]
	v_fma_f64 v[6:7], v[2:3], s[10:11], -v[6:7]
	v_add_f64 v[122:123], v[8:9], v[34:35]
	v_add_f64 v[130:131], v[6:7], v[30:31]
	v_fma_f64 v[6:7], v[2:3], s[4:5], v[4:5]
	v_fma_f64 v[2:3], v[2:3], s[4:5], -v[4:5]
	v_add_f64 v[134:135], v[6:7], v[32:33]
	v_add_f64 v[138:139], v[2:3], v[0:1]
	buffer_load_dword v0, off, s[60:63], 0  ; 4-byte Folded Reload
	s_waitcnt vmcnt(0)
	ds_read_b64 v[124:125], v0
	ds_read2_b64 v[0:3], v237 offset0:119 offset1:136
	ds_read2_b64 v[8:11], v237 offset0:221 offset1:238
	;; [unrolled: 1-line block ×17, first 2 shown]
	s_waitcnt lgkmcnt(0)
	; wave barrier
	s_waitcnt lgkmcnt(0)
	ds_write2_b64 v82, v[238:239], v[154:155] offset1:7
	ds_write2_b64 v82, v[166:167], v[170:171] offset0:14 offset1:21
	ds_write2_b64 v82, v[186:187], v[190:191] offset0:28 offset1:35
	;; [unrolled: 1-line block ×7, first 2 shown]
	ds_write_b64 v82, v[148:149] offset:896
	ds_write2_b64 v83, v[204:205], v[70:71] offset1:7
	ds_write2_b64 v83, v[76:77], v[87:88] offset0:14 offset1:21
	ds_write2_b64 v83, v[91:92], v[95:96] offset0:28 offset1:35
	ds_write2_b64 v83, v[99:100], v[122:123] offset0:42 offset1:49
	ds_write2_b64 v83, v[134:135], v[138:139] offset0:56 offset1:63
	ds_write2_b64 v83, v[130:131], v[101:102] offset0:70 offset1:77
	ds_write2_b64 v83, v[97:98], v[93:94] offset0:84 offset1:91
	ds_write2_b64 v83, v[89:90], v[78:79] offset0:98 offset1:105
	ds_write_b64 v83, v[72:73] offset:896
	s_and_saveexec_b64 s[4:5], s[0:1]
	s_cbranch_execz .LBB0_18
; %bb.17:
	buffer_load_dword v64, off, s[60:63], 0 offset:212 ; 4-byte Folded Reload
	buffer_load_dword v65, off, s[60:63], 0 offset:216 ; 4-byte Folded Reload
	s_mov_b32 s40, 0x7c9e640b
	s_mov_b32 s30, 0xeb564b22
	;; [unrolled: 1-line block ×36, first 2 shown]
	v_mov_b32_e32 v133, v75
	s_mov_b32 s43, 0x3fd71e95
	s_mov_b32 s42, s22
	v_mov_b32_e32 v132, v74
	s_mov_b32 s45, 0x3fc7851a
	s_mov_b32 s44, s34
	;; [unrolled: 1-line block ×4, first 2 shown]
	s_waitcnt vmcnt(0)
	v_add_f64 v[70:71], v[232:233], v[64:65]
	v_add_f64 v[72:73], v[64:65], v[252:253]
	buffer_load_dword v64, off, s[60:63], 0 offset:196 ; 4-byte Folded Reload
	buffer_load_dword v65, off, s[60:63], 0 offset:200 ; 4-byte Folded Reload
	;; [unrolled: 1-line block ×4, first 2 shown]
	s_waitcnt vmcnt(2)
	v_add_f64 v[76:77], v[64:65], -v[103:104]
	buffer_load_dword v104, off, s[60:63], 0 offset:132 ; 4-byte Folded Reload
	buffer_load_dword v105, off, s[60:63], 0 offset:136 ; 4-byte Folded Reload
	;; [unrolled: 1-line block ×18, first 2 shown]
	s_waitcnt vmcnt(18)
	v_add_f64 v[70:71], v[70:71], v[78:79]
	buffer_load_dword v164, off, s[60:63], 0 offset:156 ; 4-byte Folded Reload
	buffer_load_dword v165, off, s[60:63], 0 offset:160 ; 4-byte Folded Reload
	v_mul_f64 v[88:89], v[76:77], s[40:41]
	v_mul_f64 v[90:91], v[76:77], s[30:31]
	;; [unrolled: 1-line block ×8, first 2 shown]
	v_fma_f64 v[136:137], v[72:73], s[0:1], v[88:89]
	v_fma_f64 v[88:89], v[72:73], s[0:1], -v[88:89]
	v_fma_f64 v[138:139], v[72:73], s[12:13], v[90:91]
	v_fma_f64 v[90:91], v[72:73], s[12:13], -v[90:91]
	v_fma_f64 v[130:131], v[72:73], s[6:7], v[84:85]
	v_fma_f64 v[140:141], v[72:73], s[14:15], v[92:93]
	v_fma_f64 v[92:93], v[72:73], s[14:15], -v[92:93]
	v_fma_f64 v[142:143], v[72:73], s[18:19], v[94:95]
	v_fma_f64 v[94:95], v[72:73], s[18:19], -v[94:95]
	v_fma_f64 v[144:145], v[72:73], s[24:25], v[96:97]
	v_add_f64 v[88:89], v[232:233], v[88:89]
	v_add_f64 v[90:91], v[232:233], v[90:91]
	v_fma_f64 v[84:85], v[72:73], s[6:7], -v[84:85]
	v_fma_f64 v[134:135], v[72:73], s[10:11], v[86:87]
	v_fma_f64 v[86:87], v[72:73], s[10:11], -v[86:87]
	v_fma_f64 v[96:97], v[72:73], s[24:25], -v[96:97]
	v_fma_f64 v[146:147], v[72:73], s[28:29], v[76:77]
	v_fma_f64 v[72:73], v[72:73], s[28:29], -v[76:77]
	v_add_f64 v[130:131], v[232:233], v[130:131]
	v_add_f64 v[92:93], v[232:233], v[92:93]
	v_add_f64 v[142:143], v[232:233], v[142:143]
	v_add_f64 v[94:95], v[232:233], v[94:95]
	v_add_f64 v[144:145], v[232:233], v[144:145]
	v_add_f64 v[84:85], v[232:233], v[84:85]
	v_add_f64 v[134:135], v[232:233], v[134:135]
	v_add_f64 v[86:87], v[232:233], v[86:87]
	v_add_f64 v[96:97], v[232:233], v[96:97]
	v_add_f64 v[72:73], v[232:233], v[72:73]
	v_add_f64 v[136:137], v[232:233], v[136:137]
	v_add_f64 v[138:139], v[232:233], v[138:139]
	v_add_f64 v[140:141], v[232:233], v[140:141]
	v_add_f64 v[146:147], v[232:233], v[146:147]
	s_waitcnt vmcnt(18)
	v_add_f64 v[70:71], v[70:71], v[104:105]
	v_add_f64 v[104:105], v[104:105], v[254:255]
	s_waitcnt vmcnt(12)
	v_add_f64 v[78:79], v[78:79], v[106:107]
	s_waitcnt vmcnt(8)
	v_add_f64 v[82:83], v[82:83], -v[112:113]
	v_add_f64 v[70:71], v[70:71], v[110:111]
	s_waitcnt vmcnt(0)
	v_add_f64 v[110:111], v[110:111], v[164:165]
	v_mul_f64 v[102:103], v[82:83], s[20:21]
	v_mul_f64 v[112:113], v[82:83], s[34:35]
	;; [unrolled: 1-line block ×3, first 2 shown]
	v_add_f64 v[70:71], v[70:71], v[64:65]
	v_mul_f64 v[118:119], v[82:83], s[48:49]
	v_mul_f64 v[122:123], v[82:83], s[46:47]
	;; [unrolled: 1-line block ×4, first 2 shown]
	v_fma_f64 v[150:151], v[78:79], s[18:19], v[102:103]
	v_fma_f64 v[102:103], v[78:79], s[18:19], -v[102:103]
	v_fma_f64 v[152:153], v[78:79], s[28:29], v[112:113]
	v_add_f64 v[70:71], v[70:71], v[162:163]
	v_fma_f64 v[112:113], v[78:79], s[28:29], -v[112:113]
	v_fma_f64 v[76:77], v[78:79], s[10:11], v[98:99]
	v_fma_f64 v[154:155], v[78:79], s[24:25], v[118:119]
	v_mul_f64 v[82:83], v[82:83], s[42:43]
	v_fma_f64 v[98:99], v[78:79], s[10:11], -v[98:99]
	v_add_f64 v[88:89], v[102:103], v[88:89]
	v_fma_f64 v[102:103], v[78:79], s[24:25], -v[118:119]
	v_add_f64 v[70:71], v[70:71], v[160:161]
	v_fma_f64 v[118:119], v[78:79], s[0:1], v[126:127]
	v_fma_f64 v[148:149], v[78:79], s[12:13], v[100:101]
	v_fma_f64 v[100:101], v[78:79], s[12:13], -v[100:101]
	v_add_f64 v[76:77], v[76:77], v[130:131]
	v_add_f64 v[80:81], v[98:99], v[84:85]
	;; [unrolled: 1-line block ×14, first 2 shown]
	v_fma_f64 v[112:113], v[78:79], s[14:15], v[122:123]
	v_add_f64 v[90:91], v[154:155], v[140:141]
	v_add_f64 v[70:71], v[70:71], v[164:165]
	;; [unrolled: 1-line block ×6, first 2 shown]
	buffer_load_dword v106, off, s[60:63], 0 offset:140 ; 4-byte Folded Reload
	buffer_load_dword v107, off, s[60:63], 0 offset:144 ; 4-byte Folded Reload
	v_add_f64 v[70:71], v[70:71], v[252:253]
	s_waitcnt vmcnt(0)
	v_add_f64 v[106:107], v[106:107], -v[116:117]
	v_fma_f64 v[116:117], v[78:79], s[14:15], -v[122:123]
	v_fma_f64 v[122:123], v[78:79], s[0:1], -v[126:127]
	v_mul_f64 v[120:121], v[106:107], s[40:41]
	v_add_f64 v[94:95], v[116:117], v[94:95]
	v_fma_f64 v[116:117], v[78:79], s[6:7], v[82:83]
	v_fma_f64 v[78:79], v[78:79], s[6:7], -v[82:83]
	v_mul_f64 v[118:119], v[106:107], s[20:21]
	v_add_f64 v[96:97], v[122:123], v[96:97]
	v_mul_f64 v[122:123], v[106:107], s[44:45]
	s_mov_b32 s45, 0x3fe58eea
	v_fma_f64 v[82:83], v[104:105], s[0:1], v[120:121]
	s_mov_b32 s44, s36
	v_mul_f64 v[130:131], v[106:107], s[44:45]
	v_add_f64 v[72:73], v[78:79], v[72:73]
	v_fma_f64 v[78:79], v[104:105], s[0:1], -v[120:121]
	v_mul_f64 v[120:121], v[106:107], s[46:47]
	v_fma_f64 v[126:127], v[104:105], s[28:29], v[122:123]
	v_add_f64 v[116:117], v[116:117], v[146:147]
	v_add_f64 v[76:77], v[82:83], v[76:77]
	v_fma_f64 v[82:83], v[104:105], s[18:19], v[118:119]
	v_fma_f64 v[118:119], v[104:105], s[18:19], -v[118:119]
	v_add_f64 v[78:79], v[78:79], v[80:81]
	v_fma_f64 v[80:81], v[104:105], s[28:29], -v[122:123]
	v_add_f64 v[98:99], v[126:127], v[98:99]
	v_fma_f64 v[122:123], v[104:105], s[14:15], v[120:121]
	v_add_f64 v[82:83], v[82:83], v[84:85]
	v_add_f64 v[84:85], v[118:119], v[86:87]
	v_fma_f64 v[86:87], v[104:105], s[14:15], -v[120:121]
	v_fma_f64 v[118:119], v[104:105], s[10:11], v[130:131]
	v_mul_f64 v[120:121], v[106:107], s[22:23]
	v_add_f64 v[80:81], v[80:81], v[88:89]
	v_add_f64 v[88:89], v[122:123], v[100:101]
	v_mul_f64 v[100:101], v[106:107], s[30:31]
	v_fma_f64 v[122:123], v[104:105], s[10:11], -v[130:131]
	v_mul_f64 v[106:107], v[106:107], s[26:27]
	v_add_f64 v[74:75], v[86:87], v[74:75]
	buffer_load_dword v86, off, s[60:63], 0 offset:124 ; 4-byte Folded Reload
	buffer_load_dword v87, off, s[60:63], 0 offset:128 ; 4-byte Folded Reload
	buffer_load_dword v126, off, s[60:63], 0 offset:172 ; 4-byte Folded Reload
	buffer_load_dword v127, off, s[60:63], 0 offset:176 ; 4-byte Folded Reload
	v_add_f64 v[90:91], v[118:119], v[90:91]
	v_fma_f64 v[118:119], v[104:105], s[6:7], -v[120:121]
	v_add_f64 v[92:93], v[122:123], v[92:93]
	v_add_f64 v[94:95], v[118:119], v[94:95]
	s_waitcnt vmcnt(0)
	v_add_f64 v[86:87], v[86:87], -v[126:127]
	v_mov_b32_e32 v127, v115
	v_mov_b32_e32 v126, v114
	v_fma_f64 v[114:115], v[104:105], s[6:7], v[120:121]
	v_fma_f64 v[120:121], v[104:105], s[12:13], v[100:101]
	v_fma_f64 v[100:101], v[104:105], s[12:13], -v[100:101]
	v_mul_f64 v[122:123], v[86:87], s[30:31]
	v_add_f64 v[102:103], v[114:115], v[102:103]
	v_fma_f64 v[114:115], v[104:105], s[24:25], v[106:107]
	v_fma_f64 v[104:105], v[104:105], s[24:25], -v[106:107]
	v_mul_f64 v[106:107], v[86:87], s[34:35]
	v_add_f64 v[96:97], v[100:101], v[96:97]
	v_fma_f64 v[118:119], v[110:111], s[12:13], v[122:123]
	v_mul_f64 v[100:101], v[86:87], s[46:47]
	v_add_f64 v[112:113], v[120:121], v[112:113]
	v_mul_f64 v[120:121], v[86:87], s[42:43]
	v_add_f64 v[114:115], v[114:115], v[116:117]
	v_fma_f64 v[116:117], v[110:111], s[12:13], -v[122:123]
	v_add_f64 v[72:73], v[104:105], v[72:73]
	v_fma_f64 v[104:105], v[110:111], s[28:29], v[106:107]
	v_add_f64 v[76:77], v[118:119], v[76:77]
	v_fma_f64 v[106:107], v[110:111], s[28:29], -v[106:107]
	v_fma_f64 v[118:119], v[110:111], s[14:15], v[100:101]
	v_fma_f64 v[100:101], v[110:111], s[14:15], -v[100:101]
	v_mul_f64 v[122:123], v[86:87], s[40:41]
	v_add_f64 v[78:79], v[116:117], v[78:79]
	v_fma_f64 v[116:117], v[110:111], s[6:7], v[120:121]
	v_add_f64 v[82:83], v[104:105], v[82:83]
	v_mul_f64 v[104:105], v[86:87], s[26:27]
	v_add_f64 v[84:85], v[106:107], v[84:85]
	v_add_f64 v[98:99], v[118:119], v[98:99]
	;; [unrolled: 1-line block ×3, first 2 shown]
	v_fma_f64 v[100:101], v[110:111], s[6:7], -v[120:121]
	v_fma_f64 v[106:107], v[110:111], s[0:1], v[122:123]
	v_mul_f64 v[120:121], v[86:87], s[50:51]
	v_add_f64 v[88:89], v[116:117], v[88:89]
	v_fma_f64 v[118:119], v[110:111], s[24:25], v[104:105]
	v_fma_f64 v[116:117], v[110:111], s[0:1], -v[122:123]
	v_mul_f64 v[86:87], v[86:87], s[44:45]
	v_fma_f64 v[104:105], v[110:111], s[24:25], -v[104:105]
	v_add_f64 v[74:75], v[100:101], v[74:75]
	v_add_f64 v[90:91], v[106:107], v[90:91]
	buffer_load_dword v100, off, s[60:63], 0 offset:100 ; 4-byte Folded Reload
	buffer_load_dword v101, off, s[60:63], 0 offset:104 ; 4-byte Folded Reload
	;; [unrolled: 1-line block ×4, first 2 shown]
	v_mov_b32_e32 v123, v109
	v_add_f64 v[102:103], v[118:119], v[102:103]
	v_add_f64 v[92:93], v[116:117], v[92:93]
	v_mov_b32_e32 v122, v108
	v_fma_f64 v[108:109], v[110:111], s[18:19], -v[120:121]
	v_fma_f64 v[116:117], v[110:111], s[10:11], v[86:87]
	v_fma_f64 v[86:87], v[110:111], s[10:11], -v[86:87]
	v_add_f64 v[94:95], v[104:105], v[94:95]
	v_add_f64 v[96:97], v[108:109], v[96:97]
	;; [unrolled: 1-line block ×4, first 2 shown]
	s_waitcnt vmcnt(0)
	v_add_f64 v[100:101], v[100:101], -v[106:107]
	v_fma_f64 v[106:107], v[110:111], s[18:19], v[120:121]
	v_mul_f64 v[118:119], v[100:101], s[16:17]
	v_mul_f64 v[104:105], v[100:101], s[48:49]
	v_add_f64 v[106:107], v[106:107], v[112:113]
	v_mul_f64 v[110:111], v[100:101], s[44:45]
	v_fma_f64 v[112:113], v[64:65], s[14:15], v[118:119]
	v_fma_f64 v[86:87], v[64:65], s[14:15], -v[118:119]
	v_fma_f64 v[114:115], v[64:65], s[24:25], v[104:105]
	v_fma_f64 v[104:105], v[64:65], s[24:25], -v[104:105]
	v_fma_f64 v[116:117], v[64:65], s[10:11], v[110:111]
	v_mul_f64 v[118:119], v[100:101], s[40:41]
	v_fma_f64 v[110:111], v[64:65], s[10:11], -v[110:111]
	s_mov_b32 s41, 0x3fefdd0d
	v_add_f64 v[76:77], v[112:113], v[76:77]
	v_mul_f64 v[112:113], v[100:101], s[34:35]
	v_add_f64 v[78:79], v[86:87], v[78:79]
	v_add_f64 v[84:85], v[104:105], v[84:85]
	;; [unrolled: 1-line block ×3, first 2 shown]
	v_fma_f64 v[104:105], v[64:65], s[0:1], -v[118:119]
	v_add_f64 v[80:81], v[110:111], v[80:81]
	v_fma_f64 v[98:99], v[64:65], s[0:1], v[118:119]
	s_mov_b32 s40, s30
	v_fma_f64 v[110:111], v[64:65], s[28:29], v[112:113]
	v_add_f64 v[82:83], v[114:115], v[82:83]
	v_mul_f64 v[114:115], v[100:101], s[40:41]
	v_fma_f64 v[112:113], v[64:65], s[28:29], -v[112:113]
	v_add_f64 v[74:75], v[104:105], v[74:75]
	v_add_f64 v[116:117], v[162:163], v[126:127]
	;; [unrolled: 1-line block ×3, first 2 shown]
	v_mul_f64 v[98:99], v[100:101], s[22:23]
	v_add_f64 v[90:91], v[110:111], v[90:91]
	buffer_load_dword v104, off, s[60:63], 0 offset:76 ; 4-byte Folded Reload
	buffer_load_dword v105, off, s[60:63], 0 offset:80 ; 4-byte Folded Reload
	;; [unrolled: 1-line block ×4, first 2 shown]
	v_mul_f64 v[100:101], v[100:101], s[20:21]
	v_add_f64 v[92:93], v[112:113], v[92:93]
	v_fma_f64 v[112:113], v[64:65], s[12:13], -v[114:115]
	v_fma_f64 v[120:121], v[64:65], s[18:19], v[100:101]
	v_add_f64 v[94:95], v[112:113], v[94:95]
	v_add_f64 v[108:109], v[120:121], v[108:109]
	s_waitcnt vmcnt(0)
	v_add_f64 v[104:105], v[104:105], -v[110:111]
	v_fma_f64 v[110:111], v[64:65], s[12:13], v[114:115]
	v_fma_f64 v[114:115], v[64:65], s[6:7], v[98:99]
	v_fma_f64 v[98:99], v[64:65], s[6:7], -v[98:99]
	v_fma_f64 v[64:65], v[64:65], s[18:19], -v[100:101]
	v_mul_f64 v[118:119], v[104:105], s[20:21]
	v_mul_f64 v[112:113], v[104:105], s[26:27]
	v_add_f64 v[100:101], v[114:115], v[106:107]
	v_mul_f64 v[106:107], v[104:105], s[46:47]
	v_add_f64 v[96:97], v[98:99], v[96:97]
	v_add_f64 v[64:65], v[64:65], v[72:73]
	;; [unrolled: 1-line block ×3, first 2 shown]
	v_mul_f64 v[110:111], v[104:105], s[22:23]
	v_fma_f64 v[98:99], v[116:117], s[18:19], v[118:119]
	v_fma_f64 v[72:73], v[116:117], s[18:19], -v[118:119]
	v_fma_f64 v[114:115], v[116:117], s[14:15], v[106:107]
	v_fma_f64 v[106:107], v[116:117], s[14:15], -v[106:107]
	v_fma_f64 v[118:119], v[116:117], s[6:7], v[110:111]
	v_add_f64 v[76:77], v[98:99], v[76:77]
	v_mul_f64 v[98:99], v[104:105], s[40:41]
	v_add_f64 v[72:73], v[72:73], v[78:79]
	v_fma_f64 v[78:79], v[116:117], s[24:25], v[112:113]
	v_add_f64 v[84:85], v[106:107], v[84:85]
	v_fma_f64 v[106:107], v[116:117], s[24:25], -v[112:113]
	v_fma_f64 v[110:111], v[116:117], s[6:7], -v[110:111]
	v_add_f64 v[82:83], v[114:115], v[82:83]
	v_add_f64 v[86:87], v[118:119], v[86:87]
	v_fma_f64 v[112:113], v[116:117], s[12:13], v[98:99]
	v_add_f64 v[114:115], v[160:161], v[122:123]
	v_add_f64 v[78:79], v[78:79], v[88:89]
	v_fma_f64 v[88:89], v[116:117], s[12:13], -v[98:99]
	v_add_f64 v[74:75], v[106:107], v[74:75]
	v_mul_f64 v[98:99], v[104:105], s[34:35]
	v_add_f64 v[80:81], v[110:111], v[80:81]
	v_mul_f64 v[110:111], v[104:105], s[36:37]
	v_add_f64 v[90:91], v[112:113], v[90:91]
	buffer_load_dword v106, off, s[60:63], 0 offset:60 ; 4-byte Folded Reload
	buffer_load_dword v107, off, s[60:63], 0 offset:64 ; 4-byte Folded Reload
	;; [unrolled: 1-line block ×4, first 2 shown]
	v_mul_f64 v[104:105], v[104:105], s[38:39]
	v_add_f64 v[88:89], v[88:89], v[92:93]
	v_fma_f64 v[92:93], v[116:117], s[28:29], v[98:99]
	v_fma_f64 v[98:99], v[116:117], s[28:29], -v[98:99]
	v_fma_f64 v[120:121], v[116:117], s[0:1], v[104:105]
	v_fma_f64 v[104:105], v[116:117], s[0:1], -v[104:105]
	v_add_f64 v[92:93], v[92:93], v[100:101]
	v_add_f64 v[96:97], v[98:99], v[96:97]
	;; [unrolled: 1-line block ×4, first 2 shown]
	s_waitcnt vmcnt(0)
	v_add_f64 v[106:107], v[106:107], -v[112:113]
	v_fma_f64 v[112:113], v[116:117], s[10:11], v[110:111]
	v_fma_f64 v[110:111], v[116:117], s[10:11], -v[110:111]
	v_mul_f64 v[118:119], v[106:107], s[26:27]
	v_mul_f64 v[100:101], v[106:107], s[38:39]
	v_add_f64 v[102:103], v[112:113], v[102:103]
	v_mul_f64 v[104:105], v[106:107], s[50:51]
	v_add_f64 v[94:95], v[110:111], v[94:95]
	v_mul_f64 v[110:111], v[106:107], s[30:31]
	v_fma_f64 v[98:99], v[114:115], s[24:25], v[118:119]
	v_fma_f64 v[112:113], v[114:115], s[24:25], -v[118:119]
	v_fma_f64 v[116:117], v[114:115], s[0:1], v[100:101]
	v_fma_f64 v[100:101], v[114:115], s[0:1], -v[100:101]
	v_fma_f64 v[118:119], v[114:115], s[12:13], v[110:111]
	v_fma_f64 v[110:111], v[114:115], s[12:13], -v[110:111]
	v_add_f64 v[76:77], v[98:99], v[76:77]
	v_mul_f64 v[98:99], v[106:107], s[22:23]
	v_add_f64 v[72:73], v[112:113], v[72:73]
	v_fma_f64 v[112:113], v[114:115], s[18:19], v[104:105]
	v_add_f64 v[84:85], v[100:101], v[84:85]
	v_fma_f64 v[100:101], v[114:115], s[18:19], -v[104:105]
	v_add_f64 v[82:83], v[116:117], v[82:83]
	v_mul_f64 v[116:117], v[106:107], s[34:35]
	v_add_f64 v[80:81], v[110:111], v[80:81]
	v_fma_f64 v[104:105], v[114:115], s[6:7], v[98:99]
	v_fma_f64 v[98:99], v[114:115], s[6:7], -v[98:99]
	v_mul_f64 v[110:111], v[106:107], s[44:45]
	v_add_f64 v[86:87], v[118:119], v[86:87]
	v_add_f64 v[74:75], v[100:101], v[74:75]
	;; [unrolled: 1-line block ×3, first 2 shown]
	v_fma_f64 v[112:113], v[114:115], s[28:29], -v[116:117]
	v_mul_f64 v[106:107], v[106:107], s[16:17]
	v_add_f64 v[90:91], v[104:105], v[90:91]
	buffer_load_dword v100, off, s[60:63], 0 offset:28 ; 4-byte Folded Reload
	buffer_load_dword v101, off, s[60:63], 0 offset:32 ; 4-byte Folded Reload
	;; [unrolled: 1-line block ×4, first 2 shown]
	v_add_f64 v[88:89], v[98:99], v[88:89]
	v_fma_f64 v[98:99], v[114:115], s[10:11], v[110:111]
	v_fma_f64 v[110:111], v[114:115], s[10:11], -v[110:111]
	v_add_f64 v[94:95], v[112:113], v[94:95]
	v_add_f64 v[92:93], v[98:99], v[92:93]
	v_add_f64 v[96:97], v[110:111], v[96:97]
	v_fma_f64 v[98:99], v[114:115], s[14:15], -v[106:107]
	v_add_f64 v[64:65], v[98:99], v[64:65]
	s_waitcnt vmcnt(0)
	v_add_f64 v[100:101], v[100:101], -v[104:105]
	v_fma_f64 v[104:105], v[114:115], s[28:29], v[116:117]
	v_add_f64 v[116:117], v[156:157], v[158:159]
	v_mul_f64 v[118:119], v[100:101], s[34:35]
	v_add_f64 v[102:103], v[104:105], v[102:103]
	v_fma_f64 v[104:105], v[114:115], s[14:15], v[106:107]
	v_mul_f64 v[112:113], v[100:101], s[42:43]
	v_mul_f64 v[110:111], v[100:101], s[26:27]
	v_fma_f64 v[106:107], v[116:117], s[28:29], v[118:119]
	v_fma_f64 v[114:115], v[116:117], s[28:29], -v[118:119]
	v_add_f64 v[104:105], v[104:105], v[108:109]
	v_fma_f64 v[108:109], v[116:117], s[6:7], v[112:113]
	v_fma_f64 v[112:113], v[116:117], s[6:7], -v[112:113]
	v_fma_f64 v[98:99], v[116:117], s[24:25], v[110:111]
	v_mul_f64 v[118:119], v[100:101], s[44:45]
	v_add_f64 v[76:77], v[106:107], v[76:77]
	v_fma_f64 v[106:107], v[116:117], s[24:25], -v[110:111]
	v_add_f64 v[72:73], v[114:115], v[72:73]
	v_add_f64 v[82:83], v[108:109], v[82:83]
	;; [unrolled: 1-line block ×3, first 2 shown]
	v_mul_f64 v[112:113], v[100:101], s[20:21]
	v_add_f64 v[86:87], v[98:99], v[86:87]
	v_mul_f64 v[98:99], v[100:101], s[38:39]
	v_fma_f64 v[108:109], v[116:117], s[10:11], v[118:119]
	v_add_f64 v[80:81], v[106:107], v[80:81]
	v_mul_f64 v[106:107], v[100:101], s[16:17]
	v_mul_f64 v[100:101], v[100:101], s[40:41]
	v_fma_f64 v[110:111], v[116:117], s[10:11], -v[118:119]
	v_add_f64 v[78:79], v[108:109], v[78:79]
	v_fma_f64 v[108:109], v[116:117], s[18:19], v[112:113]
	v_fma_f64 v[114:115], v[116:117], s[14:15], v[106:107]
	;; [unrolled: 1-line block ×3, first 2 shown]
	v_fma_f64 v[100:101], v[116:117], s[12:13], -v[100:101]
	v_add_f64 v[74:75], v[110:111], v[74:75]
	v_fma_f64 v[110:111], v[116:117], s[18:19], -v[112:113]
	v_fma_f64 v[112:113], v[116:117], s[0:1], v[98:99]
	v_fma_f64 v[98:99], v[116:117], s[0:1], -v[98:99]
	v_fma_f64 v[106:107], v[116:117], s[14:15], -v[106:107]
	v_add_f64 v[92:93], v[114:115], v[92:93]
	v_add_f64 v[90:91], v[108:109], v[90:91]
	;; [unrolled: 1-line block ×3, first 2 shown]
	buffer_load_dword v101, off, s[60:63], 0 offset:16 ; 4-byte Folded Reload
	v_add_f64 v[88:89], v[110:111], v[88:89]
	v_add_f64 v[102:103], v[112:113], v[102:103]
	;; [unrolled: 1-line block ×5, first 2 shown]
	v_mov_b32_e32 v100, 3
	s_waitcnt vmcnt(0)
	v_lshlrev_b32_sdwa v100, v100, v101 dst_sel:DWORD dst_unused:UNUSED_PAD src0_sel:DWORD src1_sel:BYTE_0
	v_add3_u32 v100, 0, v100, v216
	v_add_u32_e32 v101, 0x800, v100
	ds_write2_b64 v101, v[70:71], v[76:77] offset0:220 offset1:227
	ds_write2_b64 v101, v[82:83], v[86:87] offset0:234 offset1:241
	;; [unrolled: 1-line block ×3, first 2 shown]
	v_add_u32_e32 v70, 0x1000, v100
	ds_write2_b64 v70, v[102:103], v[92:93] offset0:6 offset1:13
	ds_write2_b64 v70, v[98:99], v[64:65] offset0:20 offset1:27
	;; [unrolled: 1-line block ×5, first 2 shown]
	ds_write_b64 v100, v[72:73] offset:4704
.LBB0_18:
	s_or_b64 exec, exec, s[4:5]
	s_waitcnt lgkmcnt(0)
	; wave barrier
	s_waitcnt lgkmcnt(0)
	s_and_saveexec_b64 s[0:1], vcc
	s_cbranch_execz .LBB0_20
; %bb.19:
	v_add_u32_e32 v129, 0x66, v234
	v_lshlrev_b32_e32 v126, 2, v129
	v_mov_b32_e32 v127, 0
	v_lshlrev_b64 v[64:65], 4, v[126:127]
	v_mov_b32_e32 v116, s9
	v_add_co_u32_e32 v64, vcc, s8, v64
	v_addc_co_u32_e32 v65, vcc, v116, v65, vcc
	global_load_dwordx4 v[70:73], v[64:65], off offset:1840
	global_load_dwordx4 v[74:77], v[64:65], off offset:1824
	;; [unrolled: 1-line block ×4, first 2 shown]
	v_add_u32_e32 v130, 0x55, v234
	v_lshlrev_b32_e32 v126, 2, v130
	v_lshlrev_b64 v[64:65], 4, v[126:127]
	v_add_u32_e32 v131, 0x44, v234
	v_add_co_u32_e32 v64, vcc, s8, v64
	v_addc_co_u32_e32 v65, vcc, v116, v65, vcc
	global_load_dwordx4 v[96:99], v[64:65], off offset:1808
	global_load_dwordx4 v[100:103], v[64:65], off offset:1792
	;; [unrolled: 1-line block ×4, first 2 shown]
	v_add_u32_e32 v133, 0x800, v237
	ds_read2_b64 v[84:87], v237 offset0:221 offset1:238
	v_add_u32_e32 v123, 0x1000, v237
	ds_read2_b64 v[112:115], v237 offset0:85 offset1:102
	ds_read2_b64 v[117:120], v237 offset0:187 offset1:204
	;; [unrolled: 1-line block ×5, first 2 shown]
	v_lshlrev_b32_e32 v126, 2, v131
	v_lshlrev_b64 v[64:65], 4, v[126:127]
	ds_read2_b64 v[142:145], v133 offset0:169 offset1:186
	v_add_co_u32_e32 v64, vcc, s8, v64
	v_addc_co_u32_e32 v65, vcc, v116, v65, vcc
	global_load_dwordx4 v[146:149], v[64:65], off offset:1840
	global_load_dwordx4 v[150:153], v[64:65], off offset:1824
	;; [unrolled: 1-line block ×4, first 2 shown]
	s_mov_b32 s10, 0x134454ff
	s_mov_b32 s11, 0xbfee6f0e
	;; [unrolled: 1-line block ×10, first 2 shown]
	v_add_u32_e32 v132, 51, v234
	v_lshlrev_b32_e32 v126, 2, v132
	v_add_u32_e32 v128, 34, v234
	v_mov_b32_e32 v235, v127
	s_movk_i32 s9, 0x1000
	s_waitcnt vmcnt(11)
	v_mul_f64 v[162:163], v[68:69], v[72:73]
	s_waitcnt vmcnt(10)
	v_mul_f64 v[121:122], v[4:5], v[76:77]
	;; [unrolled: 2-line block ×4, first 2 shown]
	s_waitcnt lgkmcnt(6)
	v_mul_f64 v[94:95], v[84:85], v[94:95]
	s_waitcnt lgkmcnt(1)
	v_mul_f64 v[72:73], v[140:141], v[72:73]
	v_mul_f64 v[80:81], v[136:137], v[80:81]
	;; [unrolled: 1-line block ×3, first 2 shown]
	s_waitcnt vmcnt(7)
	v_mul_f64 v[164:165], v[60:61], v[98:99]
	s_waitcnt vmcnt(6)
	v_mul_f64 v[166:167], v[50:51], v[102:103]
	;; [unrolled: 2-line block ×3, first 2 shown]
	v_mul_f64 v[98:99], v[134:135], v[98:99]
	v_fma_f64 v[64:65], v[136:137], v[78:79], v[64:65]
	v_fma_f64 v[82:83], v[84:85], v[92:93], v[82:83]
	v_fma_f64 v[84:85], v[88:89], v[74:75], v[121:122]
	v_fma_f64 v[88:89], v[140:141], v[70:71], v[162:163]
	v_fma_f64 v[8:9], v[8:9], v[92:93], -v[94:95]
	v_fma_f64 v[70:71], v[68:69], v[70:71], -v[72:73]
	;; [unrolled: 1-line block ×4, first 2 shown]
	s_waitcnt vmcnt(4)
	v_mul_f64 v[170:171], v[66:67], v[110:111]
	v_mul_f64 v[102:103], v[119:120], v[102:103]
	s_waitcnt lgkmcnt(0)
	v_mul_f64 v[106:107], v[144:145], v[106:107]
	v_fma_f64 v[80:81], v[134:135], v[96:97], v[164:165]
	v_fma_f64 v[92:93], v[119:120], v[100:101], v[166:167]
	;; [unrolled: 1-line block ×3, first 2 shown]
	v_fma_f64 v[96:97], v[60:61], v[96:97], -v[98:99]
	v_add_f64 v[60:61], v[64:65], -v[82:83]
	v_add_f64 v[62:63], v[84:85], -v[88:89]
	v_add_f64 v[72:73], v[82:83], v[88:89]
	v_add_f64 v[119:120], v[64:65], v[84:85]
	;; [unrolled: 1-line block ×5, first 2 shown]
	v_mul_f64 v[110:111], v[138:139], v[110:111]
	v_fma_f64 v[134:135], v[138:139], v[108:109], v[170:171]
	v_add_f64 v[68:69], v[8:9], -v[70:71]
	v_add_f64 v[74:75], v[78:79], -v[4:5]
	;; [unrolled: 1-line block ×8, first 2 shown]
	v_add_f64 v[60:61], v[60:61], v[62:63]
	v_fma_f64 v[62:63], v[72:73], -0.5, v[114:115]
	v_fma_f64 v[72:73], v[119:120], -0.5, v[114:115]
	v_add_f64 v[64:65], v[64:65], v[121:122]
	v_fma_f64 v[114:115], v[144:145], -0.5, v[54:55]
	v_fma_f64 v[121:122], v[166:167], -0.5, v[54:55]
	v_add_f64 v[76:77], v[76:77], v[98:99]
	v_add_f64 v[98:99], v[136:137], v[138:139]
	v_add_f64 v[162:163], v[8:9], -v[78:79]
	v_fma_f64 v[136:137], v[74:75], s[10:11], v[62:63]
	v_fma_f64 v[62:63], v[74:75], s[12:13], v[62:63]
	;; [unrolled: 1-line block ×4, first 2 shown]
	v_add_f64 v[64:65], v[84:85], v[64:65]
	v_fma_f64 v[84:85], v[140:141], s[12:13], v[114:115]
	v_fma_f64 v[114:115], v[140:141], s[10:11], v[114:115]
	;; [unrolled: 1-line block ×3, first 2 shown]
	v_add_f64 v[164:165], v[70:71], -v[4:5]
	v_add_f64 v[168:169], v[92:93], v[134:135]
	v_fma_f64 v[121:122], v[82:83], s[12:13], v[121:122]
	v_fma_f64 v[136:137], v[68:69], s[4:5], v[136:137]
	v_fma_f64 v[62:63], v[68:69], s[6:7], v[62:63]
	v_fma_f64 v[138:139], v[74:75], s[4:5], v[138:139]
	v_fma_f64 v[74:75], v[74:75], s[6:7], v[72:73]
	v_fma_f64 v[84:85], v[82:83], s[6:7], v[84:85]
	v_add_f64 v[72:73], v[88:89], v[64:65]
	v_fma_f64 v[82:83], v[82:83], s[4:5], v[114:115]
	v_fma_f64 v[88:89], v[140:141], s[6:7], v[144:145]
	v_fma_f64 v[144:145], v[58:59], v[104:105], -v[106:107]
	v_add_f64 v[119:120], v[162:163], v[164:165]
	v_fma_f64 v[64:65], v[60:61], s[0:1], v[136:137]
	v_fma_f64 v[68:69], v[60:61], s[0:1], v[62:63]
	v_fma_f64 v[60:61], v[76:77], s[0:1], v[138:139]
	v_fma_f64 v[138:139], v[50:51], v[100:101], -v[102:103]
	v_fma_f64 v[162:163], v[66:67], v[108:109], -v[110:111]
	v_add_f64 v[50:51], v[80:81], v[94:95]
	v_add_f64 v[8:9], v[54:55], v[8:9]
	v_fma_f64 v[66:67], v[98:99], s[0:1], v[82:83]
	v_fma_f64 v[54:55], v[168:169], -0.5, v[112:113]
	v_add_f64 v[82:83], v[96:97], -v[144:145]
	v_fma_f64 v[62:63], v[98:99], s[0:1], v[84:85]
	v_fma_f64 v[58:59], v[119:120], s[0:1], v[88:89]
	v_add_f64 v[84:85], v[138:139], -v[162:163]
	v_fma_f64 v[50:51], v[50:51], -0.5, v[112:113]
	v_add_f64 v[8:9], v[78:79], v[8:9]
	v_add_f64 v[78:79], v[80:81], -v[92:93]
	v_add_f64 v[88:89], v[94:95], -v[134:135]
	v_fma_f64 v[98:99], v[82:83], s[10:11], v[54:55]
	v_fma_f64 v[54:55], v[82:83], s[12:13], v[54:55]
	v_add_f64 v[100:101], v[92:93], -v[80:81]
	v_add_f64 v[102:103], v[134:135], -v[94:95]
	v_fma_f64 v[104:105], v[84:85], s[12:13], v[50:51]
	v_add_f64 v[4:5], v[8:9], v[4:5]
	v_add_f64 v[8:9], v[92:93], v[112:113]
	;; [unrolled: 1-line block ×3, first 2 shown]
	v_fma_f64 v[88:89], v[84:85], s[4:5], v[98:99]
	v_add_f64 v[98:99], v[138:139], v[162:163]
	v_fma_f64 v[54:55], v[84:85], s[6:7], v[54:55]
	v_add_f64 v[100:101], v[100:101], v[102:103]
	v_fma_f64 v[102:103], v[82:83], s[4:5], v[104:105]
	v_fma_f64 v[104:105], v[84:85], s[10:11], v[50:51]
	v_add_f64 v[8:9], v[80:81], v[8:9]
	v_add_f64 v[70:71], v[4:5], v[70:71]
	v_add_f64 v[4:5], v[80:81], -v[94:95]
	v_fma_f64 v[98:99], v[98:99], -0.5, v[52:53]
	v_fma_f64 v[80:81], v[78:79], s[0:1], v[88:89]
	v_fma_f64 v[84:85], v[78:79], s[0:1], v[54:55]
	v_add_f64 v[78:79], v[96:97], -v[138:139]
	v_fma_f64 v[54:55], v[82:83], s[6:7], v[104:105]
	v_add_f64 v[8:9], v[94:95], v[8:9]
	v_add_f64 v[82:83], v[144:145], -v[162:163]
	v_add_f64 v[92:93], v[92:93], -v[134:135]
	v_fma_f64 v[88:89], v[4:5], s[12:13], v[98:99]
	v_fma_f64 v[94:95], v[4:5], s[10:11], v[98:99]
	;; [unrolled: 1-line block ×5, first 2 shown]
	v_add_f64 v[102:103], v[96:97], v[144:145]
	v_add_f64 v[82:83], v[78:79], v[82:83]
	v_add_f64 v[104:105], v[138:139], -v[96:97]
	v_fma_f64 v[78:79], v[92:93], s[6:7], v[88:89]
	v_fma_f64 v[88:89], v[92:93], s[4:5], v[94:95]
	v_add_f64 v[106:107], v[162:163], -v[144:145]
	v_add_f64 v[94:95], v[134:135], v[8:9]
	s_waitcnt vmcnt(0)
	v_mul_f64 v[134:135], v[48:49], v[160:161]
	v_lshlrev_b64 v[98:99], 4, v[126:127]
	v_fma_f64 v[74:75], v[119:120], s[0:1], v[74:75]
	v_add_co_u32_e32 v98, vcc, s8, v98
	v_addc_co_u32_e32 v99, vcc, v116, v99, vcc
	global_load_dwordx4 v[108:111], v[98:99], off offset:1808
	global_load_dwordx4 v[112:115], v[98:99], off offset:1792
	;; [unrolled: 1-line block ×3, first 2 shown]
	v_fma_f64 v[54:55], v[100:101], s[0:1], v[54:55]
	v_fma_f64 v[8:9], v[102:103], -0.5, v[52:53]
	v_fma_f64 v[78:79], v[82:83], s[0:1], v[78:79]
	v_fma_f64 v[82:83], v[82:83], s[0:1], v[88:89]
	v_add_f64 v[88:89], v[104:105], v[106:107]
	ds_read2_b64 v[100:103], v123 offset0:15 offset1:32
	ds_read2_b64 v[104:107], v133 offset0:33 offset1:50
	v_fma_f64 v[166:167], v[117:118], v[158:159], v[134:135]
	global_load_dwordx4 v[134:137], v[98:99], off offset:1824
	v_mul_f64 v[140:141], v[42:43], v[148:149]
	v_fma_f64 v[164:165], v[92:93], s[10:11], v[8:9]
	s_waitcnt lgkmcnt(0)
	v_mul_f64 v[98:99], v[106:107], v[156:157]
	v_fma_f64 v[8:9], v[92:93], s[12:13], v[8:9]
	v_mul_f64 v[92:93], v[46:47], v[156:157]
	v_mul_f64 v[117:118], v[117:118], v[160:161]
	v_lshlrev_b32_e32 v126, 2, v128
	v_fma_f64 v[168:169], v[102:103], v[146:147], v[140:141]
	v_mul_f64 v[140:141], v[142:143], v[152:153]
	v_mul_f64 v[152:153], v[56:57], v[152:153]
	;; [unrolled: 1-line block ×3, first 2 shown]
	v_fma_f64 v[160:161], v[46:47], v[154:155], -v[98:99]
	v_fma_f64 v[92:93], v[106:107], v[154:155], v[92:93]
	v_add_f64 v[46:47], v[52:53], v[138:139]
	v_fma_f64 v[117:118], v[48:49], v[158:159], -v[117:118]
	v_add_f64 v[148:149], v[166:167], v[168:169]
	v_fma_f64 v[56:57], v[56:57], v[150:151], -v[140:141]
	v_fma_f64 v[98:99], v[142:143], v[150:151], v[152:153]
	ds_read2_b64 v[138:141], v237 offset0:51 offset1:68
	v_fma_f64 v[170:171], v[42:43], v[146:147], -v[102:103]
	v_fma_f64 v[48:49], v[4:5], s[6:7], v[164:165]
	v_fma_f64 v[4:5], v[4:5], s[4:5], v[8:9]
	v_add_f64 v[8:9], v[96:97], v[46:47]
	s_waitcnt lgkmcnt(0)
	v_fma_f64 v[42:43], v[148:149], -0.5, v[140:141]
	v_add_f64 v[102:103], v[160:161], -v[56:57]
	v_add_f64 v[142:143], v[92:93], v[98:99]
	v_add_f64 v[46:47], v[92:93], -v[166:167]
	v_add_f64 v[96:97], v[98:99], -v[168:169]
	v_add_f64 v[106:107], v[117:118], -v[170:171]
	v_fma_f64 v[48:49], v[88:89], s[0:1], v[48:49]
	v_fma_f64 v[52:53], v[88:89], s[0:1], v[4:5]
	v_add_f64 v[8:9], v[8:9], v[144:145]
	v_fma_f64 v[146:147], v[102:103], s[10:11], v[42:43]
	v_fma_f64 v[88:89], v[142:143], -0.5, v[140:141]
	v_fma_f64 v[42:43], v[102:103], s[12:13], v[42:43]
	v_add_f64 v[46:47], v[46:47], v[96:97]
	v_add_f64 v[140:141], v[166:167], v[140:141]
	v_add_f64 v[142:143], v[166:167], -v[92:93]
	v_add_f64 v[144:145], v[168:169], -v[98:99]
	v_add_f64 v[4:5], v[117:118], v[170:171]
	v_fma_f64 v[96:97], v[106:107], s[4:5], v[146:147]
	v_fma_f64 v[146:147], v[106:107], s[12:13], v[88:89]
	;; [unrolled: 1-line block ×4, first 2 shown]
	v_add_f64 v[106:107], v[92:93], v[140:141]
	v_add_f64 v[164:165], v[92:93], -v[98:99]
	v_add_f64 v[142:143], v[142:143], v[144:145]
	v_fma_f64 v[4:5], v[4:5], -0.5, v[38:39]
	v_add_f64 v[140:141], v[160:161], -v[117:118]
	v_fma_f64 v[144:145], v[102:103], s[4:5], v[146:147]
	v_add_f64 v[148:149], v[56:57], -v[170:171]
	v_fma_f64 v[88:89], v[102:103], s[6:7], v[88:89]
	v_add_f64 v[92:93], v[8:9], v[162:163]
	v_add_f64 v[8:9], v[98:99], v[106:107]
	v_fma_f64 v[98:99], v[46:47], s[0:1], v[96:97]
	v_fma_f64 v[46:47], v[46:47], s[0:1], v[42:43]
	;; [unrolled: 1-line block ×4, first 2 shown]
	ds_read2_b64 v[144:147], v133 offset0:135 offset1:152
	v_add_f64 v[166:167], v[166:167], -v[168:169]
	v_add_f64 v[162:163], v[140:141], v[148:149]
	v_fma_f64 v[102:103], v[142:143], s[0:1], v[88:89]
	v_add_f64 v[172:173], v[160:161], v[56:57]
	v_lshlrev_b64 v[148:149], 4, v[126:127]
	ds_read2_b64 v[140:143], v237 offset0:153 offset1:170
	v_add_co_u32_e32 v176, vcc, s8, v148
	v_addc_co_u32_e32 v177, vcc, v116, v149, vcc
	s_waitcnt vmcnt(2)
	v_mul_f64 v[88:89], v[30:31], v[114:115]
	v_mul_f64 v[174:175], v[104:105], v[110:111]
	;; [unrolled: 1-line block ×3, first 2 shown]
	v_fma_f64 v[96:97], v[166:167], s[6:7], v[150:151]
	global_load_dwordx4 v[148:151], v[176:177], off offset:1808
	global_load_dwordx4 v[152:155], v[176:177], off offset:1792
	;; [unrolled: 1-line block ×3, first 2 shown]
	v_fma_f64 v[172:173], v[172:173], -0.5, v[38:39]
	s_waitcnt lgkmcnt(0)
	v_mul_f64 v[114:115], v[142:143], v[114:115]
	v_fma_f64 v[88:89], v[142:143], v[112:113], v[88:89]
	s_waitcnt vmcnt(3)
	v_mul_f64 v[178:179], v[146:147], v[136:137]
	v_mul_f64 v[136:137], v[34:35], v[136:137]
	v_fma_f64 v[142:143], v[44:45], v[108:109], -v[174:175]
	v_add_f64 v[106:107], v[168:169], v[8:9]
	v_mul_f64 v[8:9], v[40:41], v[121:122]
	v_fma_f64 v[4:5], v[164:165], s[10:11], v[4:5]
	v_add_f64 v[168:169], v[117:118], -v[160:161]
	v_fma_f64 v[44:45], v[166:167], s[10:11], v[172:173]
	v_fma_f64 v[180:181], v[34:35], v[134:135], -v[178:179]
	v_add_f64 v[34:35], v[38:39], v[117:118]
	v_fma_f64 v[38:39], v[104:105], v[108:109], v[110:111]
	v_fma_f64 v[108:109], v[146:147], v[134:135], v[136:137]
	global_load_dwordx4 v[134:137], v[176:177], off offset:1824
	v_fma_f64 v[8:9], v[100:101], v[119:120], v[8:9]
	v_mul_f64 v[100:101], v[100:101], v[121:122]
	v_fma_f64 v[117:118], v[30:31], v[112:113], -v[114:115]
	v_add_f64 v[112:113], v[142:143], -v[180:181]
	v_add_f64 v[34:35], v[160:161], v[34:35]
	v_add_f64 v[104:105], v[38:39], -v[88:89]
	v_fma_f64 v[4:5], v[166:167], s[4:5], v[4:5]
	v_fma_f64 v[96:97], v[162:163], s[0:1], v[96:97]
	v_add_f64 v[121:122], v[88:89], v[8:9]
	v_fma_f64 v[119:120], v[40:41], v[119:120], -v[100:101]
	v_add_f64 v[110:111], v[108:109], -v[8:9]
	v_add_f64 v[40:41], v[170:171], -v[56:57]
	v_fma_f64 v[100:101], v[166:167], s[12:13], v[172:173]
	v_add_f64 v[34:35], v[34:35], v[56:57]
	v_add_f64 v[160:161], v[8:9], -v[108:109]
	v_fma_f64 v[30:31], v[121:122], -0.5, v[138:139]
	v_add_f64 v[114:115], v[117:118], -v[119:120]
	v_add_f64 v[56:57], v[104:105], v[110:111]
	v_add_f64 v[110:111], v[38:39], v[108:109]
	;; [unrolled: 1-line block ×3, first 2 shown]
	v_fma_f64 v[40:41], v[164:165], s[6:7], v[44:45]
	v_fma_f64 v[100:101], v[164:165], s[4:5], v[100:101]
	;; [unrolled: 1-line block ×5, first 2 shown]
	v_add_f64 v[30:31], v[117:118], v[119:120]
	v_add_f64 v[104:105], v[34:35], v[170:171]
	v_fma_f64 v[34:35], v[110:111], -0.5, v[138:139]
	v_fma_f64 v[40:41], v[146:147], s[0:1], v[40:41]
	v_fma_f64 v[100:101], v[146:147], s[0:1], v[100:101]
	v_add_f64 v[146:147], v[38:39], -v[108:109]
	v_fma_f64 v[121:122], v[114:115], s[4:5], v[121:122]
	v_fma_f64 v[4:5], v[114:115], s[6:7], v[4:5]
	v_fma_f64 v[30:31], v[30:31], -0.5, v[36:37]
	v_add_f64 v[166:167], v[119:120], -v[180:181]
	v_fma_f64 v[162:163], v[114:115], s[12:13], v[34:35]
	v_fma_f64 v[34:35], v[114:115], s[10:11], v[34:35]
	v_add_f64 v[114:115], v[142:143], -v[117:118]
	v_fma_f64 v[110:111], v[56:57], s[0:1], v[121:122]
	v_add_f64 v[121:122], v[88:89], v[138:139]
	v_add_f64 v[138:139], v[88:89], -v[38:39]
	v_fma_f64 v[164:165], v[146:147], s[12:13], v[30:31]
	v_add_f64 v[88:89], v[88:89], -v[8:9]
	v_fma_f64 v[30:31], v[146:147], s[10:11], v[30:31]
	v_fma_f64 v[34:35], v[112:113], s[6:7], v[34:35]
	v_add_f64 v[38:39], v[38:39], v[121:122]
	v_add_f64 v[121:122], v[180:181], -v[119:120]
	v_add_f64 v[138:139], v[138:139], v[160:161]
	v_fma_f64 v[160:161], v[112:113], s[4:5], v[162:163]
	v_add_f64 v[162:163], v[142:143], v[180:181]
	v_add_f64 v[38:39], v[108:109], v[38:39]
	;; [unrolled: 1-line block ×3, first 2 shown]
	v_fma_f64 v[108:109], v[88:89], s[6:7], v[164:165]
	v_fma_f64 v[121:122], v[88:89], s[4:5], v[30:31]
	v_fma_f64 v[162:163], v[162:163], -0.5, v[36:37]
	v_add_f64 v[164:165], v[117:118], -v[142:143]
	v_fma_f64 v[114:115], v[56:57], s[0:1], v[4:5]
	v_fma_f64 v[30:31], v[138:139], s[0:1], v[160:161]
	v_add_f64 v[38:39], v[8:9], v[38:39]
	v_add_f64 v[36:37], v[36:37], v[117:118]
	v_fma_f64 v[108:109], v[112:113], s[0:1], v[108:109]
	v_fma_f64 v[112:113], v[112:113], s[0:1], v[121:122]
	v_add_u32_e32 v121, 17, v234
	v_fma_f64 v[8:9], v[88:89], s[10:11], v[162:163]
	v_fma_f64 v[56:57], v[88:89], s[12:13], v[162:163]
	v_add_u32_e32 v88, 0x400, v237
	v_lshlrev_b32_e32 v126, 2, v121
	ds_read2_b64 v[160:163], v88 offset0:127 offset1:144
	s_waitcnt vmcnt(2)
	v_mul_f64 v[88:89], v[28:29], v[154:155]
	s_waitcnt vmcnt(1)
	v_mul_f64 v[117:118], v[22:23], v[158:159]
	v_lshlrev_b64 v[121:122], 4, v[126:127]
	v_add_f64 v[4:5], v[164:165], v[166:167]
	v_add_co_u32_e32 v121, vcc, s8, v121
	ds_read2_b64 v[164:167], v133 offset0:237 offset1:254
	v_addc_co_u32_e32 v122, vcc, v116, v122, vcc
	v_fma_f64 v[34:35], v[138:139], s[0:1], v[34:35]
	global_load_dwordx4 v[168:171], v[121:122], off offset:1808
	global_load_dwordx4 v[172:175], v[121:122], off offset:1792
	;; [unrolled: 1-line block ×3, first 2 shown]
	s_waitcnt vmcnt(3)
	v_mul_f64 v[184:185], v[144:145], v[136:137]
	v_mul_f64 v[186:187], v[32:33], v[136:137]
	global_load_dwordx4 v[136:139], v[121:122], off offset:1824
	v_fma_f64 v[88:89], v[140:141], v[152:153], v[88:89]
	s_waitcnt lgkmcnt(0)
	v_fma_f64 v[182:183], v[166:167], v[156:157], v[117:118]
	v_mul_f64 v[117:118], v[162:163], v[150:151]
	v_mul_f64 v[150:151], v[26:27], v[150:151]
	v_mul_f64 v[154:155], v[140:141], v[154:155]
	v_mul_f64 v[121:122], v[166:167], v[158:159]
	v_fma_f64 v[188:189], v[32:33], v[134:135], -v[184:185]
	v_fma_f64 v[134:135], v[144:145], v[134:135], v[186:187]
	v_fma_f64 v[8:9], v[146:147], s[6:7], v[8:9]
	v_add_f64 v[158:159], v[88:89], v[182:183]
	v_fma_f64 v[166:167], v[26:27], v[148:149], -v[117:118]
	v_add_f64 v[26:27], v[142:143], v[36:37]
	ds_read2_b64 v[140:143], v237 offset0:17 offset1:34
	v_fma_f64 v[117:118], v[162:163], v[148:149], v[150:151]
	v_fma_f64 v[162:163], v[28:29], v[152:153], -v[154:155]
	v_fma_f64 v[190:191], v[22:23], v[156:157], -v[121:122]
	v_fma_f64 v[32:33], v[146:147], s[4:5], v[56:57]
	s_waitcnt lgkmcnt(0)
	v_fma_f64 v[22:23], v[158:159], -0.5, v[142:143]
	v_add_f64 v[144:145], v[166:167], -v[188:189]
	v_add_f64 v[26:27], v[26:27], v[180:181]
	v_add_f64 v[146:147], v[134:135], -v[182:183]
	v_add_f64 v[121:122], v[117:118], v[134:135]
	v_add_f64 v[56:57], v[117:118], -v[88:89]
	v_add_f64 v[148:149], v[162:163], -v[190:191]
	v_fma_f64 v[28:29], v[4:5], s[0:1], v[8:9]
	v_fma_f64 v[32:33], v[4:5], s[0:1], v[32:33]
	;; [unrolled: 1-line block ×4, first 2 shown]
	v_add_f64 v[36:37], v[26:27], v[119:120]
	v_fma_f64 v[4:5], v[121:122], -0.5, v[142:143]
	v_add_f64 v[26:27], v[88:89], v[142:143]
	v_add_f64 v[122:123], v[162:163], v[190:191]
	;; [unrolled: 1-line block ×3, first 2 shown]
	v_add_f64 v[120:121], v[88:89], -v[117:118]
	v_fma_f64 v[56:57], v[148:149], s[4:5], v[150:151]
	v_fma_f64 v[22:23], v[148:149], s[6:7], v[22:23]
	v_add_f64 v[142:143], v[182:183], -v[134:135]
	v_fma_f64 v[146:147], v[148:149], s[12:13], v[4:5]
	v_fma_f64 v[4:5], v[148:149], s[10:11], v[4:5]
	v_add_f64 v[26:27], v[117:118], v[26:27]
	v_add_f64 v[148:149], v[166:167], -v[162:163]
	v_add_f64 v[150:151], v[188:189], -v[190:191]
	;; [unrolled: 1-line block ×3, first 2 shown]
	v_fma_f64 v[152:153], v[122:123], -0.5, v[18:19]
	v_lshlrev_b32_e32 v126, 2, v234
	v_fma_f64 v[118:119], v[8:9], s[0:1], v[56:57]
	v_fma_f64 v[122:123], v[8:9], s[0:1], v[22:23]
	v_add_f64 v[8:9], v[120:121], v[142:143]
	v_lshlrev_b64 v[142:143], 4, v[126:127]
	v_fma_f64 v[22:23], v[144:145], s[4:5], v[146:147]
	v_add_co_u32_e32 v156, vcc, s8, v142
	v_addc_co_u32_e32 v157, vcc, v116, v143, vcc
	v_fma_f64 v[56:57], v[144:145], s[6:7], v[4:5]
	v_add_f64 v[26:27], v[134:135], v[26:27]
	v_add_f64 v[120:121], v[148:149], v[150:151]
	v_fma_f64 v[4:5], v[158:159], s[12:13], v[152:153]
	v_add_f64 v[88:89], v[88:89], -v[182:183]
	v_fma_f64 v[134:135], v[158:159], s[10:11], v[152:153]
	v_add_f64 v[154:155], v[166:167], v[188:189]
	global_load_dwordx4 v[142:145], v[156:157], off offset:1808
	global_load_dwordx4 v[146:149], v[156:157], off offset:1792
	;; [unrolled: 1-line block ×3, first 2 shown]
	v_add_f64 v[180:181], v[162:163], -v[166:167]
	v_add_f64 v[184:185], v[190:191], -v[188:189]
	v_add_f64 v[26:27], v[182:183], v[26:27]
	v_fma_f64 v[116:117], v[88:89], s[6:7], v[4:5]
	v_fma_f64 v[4:5], v[8:9], s[0:1], v[22:23]
	;; [unrolled: 1-line block ×3, first 2 shown]
	v_fma_f64 v[8:9], v[154:155], -0.5, v[18:19]
	global_load_dwordx4 v[154:157], v[156:157], off offset:1824
	v_fma_f64 v[134:135], v[88:89], s[4:5], v[134:135]
	v_add_f64 v[18:19], v[18:19], v[162:163]
	v_fma_f64 v[116:117], v[120:121], s[0:1], v[116:117]
	s_waitcnt vmcnt(6)
	v_mul_f64 v[56:57], v[2:3], v[174:175]
	s_waitcnt vmcnt(5)
	v_mul_f64 v[192:193], v[20:21], v[178:179]
	v_fma_f64 v[194:195], v[88:89], s[10:11], v[8:9]
	v_fma_f64 v[8:9], v[88:89], s[12:13], v[8:9]
	v_mul_f64 v[88:89], v[24:25], v[170:171]
	s_waitcnt vmcnt(4)
	v_mul_f64 v[196:197], v[14:15], v[138:139]
	v_fma_f64 v[120:121], v[120:121], s[0:1], v[134:135]
	v_add_f64 v[134:135], v[180:181], v[184:185]
	ds_read2_b64 v[180:183], v237 offset0:119 offset1:136
	ds_read2_b64 v[184:187], v133 offset0:101 offset1:118
	v_fma_f64 v[192:193], v[164:165], v[176:177], v[192:193]
	v_mul_f64 v[170:171], v[160:161], v[170:171]
	v_fma_f64 v[88:89], v[160:161], v[168:169], v[88:89]
	s_waitcnt lgkmcnt(1)
	v_mul_f64 v[160:161], v[182:183], v[174:175]
	s_waitcnt lgkmcnt(0)
	v_mul_f64 v[138:139], v[186:187], v[138:139]
	v_mul_f64 v[162:163], v[164:165], v[178:179]
	v_fma_f64 v[164:165], v[186:187], v[136:137], v[196:197]
	v_fma_f64 v[56:57], v[182:183], v[172:173], v[56:57]
	;; [unrolled: 1-line block ×3, first 2 shown]
	v_fma_f64 v[168:169], v[24:25], v[168:169], -v[170:171]
	v_add_f64 v[18:19], v[166:167], v[18:19]
	v_fma_f64 v[137:138], v[14:15], v[136:137], -v[138:139]
	v_fma_f64 v[14:15], v[158:159], s[6:7], v[194:195]
	v_fma_f64 v[158:159], v[2:3], v[172:173], -v[160:161]
	v_fma_f64 v[160:161], v[20:21], v[176:177], -v[162:163]
	v_add_f64 v[24:25], v[88:89], v[164:165]
	v_add_f64 v[174:175], v[56:57], v[192:193]
	v_fma_f64 v[20:21], v[134:135], s[0:1], v[8:9]
	v_add_f64 v[8:9], v[88:89], -v[56:57]
	v_add_f64 v[166:167], v[168:169], -v[137:138]
	v_fma_f64 v[2:3], v[134:135], s[0:1], v[14:15]
	v_add_f64 v[133:134], v[164:165], -v[192:193]
	v_add_f64 v[14:15], v[158:159], -v[160:161]
	v_fma_f64 v[24:25], v[24:25], -0.5, v[140:141]
	v_fma_f64 v[162:163], v[174:175], -0.5, v[140:141]
	v_add_f64 v[170:171], v[158:159], v[160:161]
	v_add_f64 v[172:173], v[56:57], -v[88:89]
	v_add_f64 v[174:175], v[192:193], -v[164:165]
	v_add_f64 v[18:19], v[18:19], v[188:189]
	v_add_f64 v[8:9], v[8:9], v[133:134]
	;; [unrolled: 1-line block ×3, first 2 shown]
	v_fma_f64 v[176:177], v[14:15], s[12:13], v[24:25]
	v_fma_f64 v[135:136], v[166:167], s[10:11], v[162:163]
	;; [unrolled: 1-line block ×3, first 2 shown]
	v_add_f64 v[139:140], v[88:89], -v[164:165]
	v_fma_f64 v[170:171], v[170:171], -0.5, v[16:17]
	v_add_f64 v[172:173], v[172:173], v[174:175]
	v_add_f64 v[178:179], v[137:138], -v[160:161]
	v_add_f64 v[88:89], v[88:89], v[133:134]
	v_fma_f64 v[174:175], v[166:167], s[4:5], v[176:177]
	v_fma_f64 v[176:177], v[14:15], s[10:11], v[24:25]
	;; [unrolled: 1-line block ×4, first 2 shown]
	v_add_f64 v[133:134], v[168:169], -v[158:159]
	v_fma_f64 v[182:183], v[139:140], s[12:13], v[170:171]
	v_add_f64 v[24:25], v[18:19], v[190:191]
	v_add_f64 v[88:89], v[164:165], v[88:89]
	v_fma_f64 v[14:15], v[172:173], s[0:1], v[174:175]
	v_fma_f64 v[18:19], v[166:167], s[6:7], v[176:177]
	;; [unrolled: 1-line block ×3, first 2 shown]
	v_add_f64 v[166:167], v[158:159], -v[168:169]
	v_add_f64 v[170:171], v[160:161], -v[137:138]
	v_fma_f64 v[135:136], v[8:9], s[0:1], v[135:136]
	v_fma_f64 v[8:9], v[8:9], s[0:1], v[162:163]
	s_waitcnt vmcnt(2)
	v_mul_f64 v[174:175], v[0:1], v[148:149]
	s_waitcnt vmcnt(1)
	v_mul_f64 v[176:177], v[6:7], v[152:153]
	v_add_f64 v[162:163], v[133:134], v[178:179]
	v_fma_f64 v[18:19], v[172:173], s[0:1], v[18:19]
	v_add_f64 v[172:173], v[168:169], v[137:138]
	v_add_f64 v[166:167], v[166:167], v[170:171]
	v_add_f64 v[56:57], v[56:57], -v[192:193]
	v_mul_f64 v[148:149], v[180:181], v[148:149]
	v_fma_f64 v[170:171], v[180:181], v[146:147], v[174:175]
	v_fma_f64 v[174:175], v[90:91], v[150:151], v[176:177]
	v_mul_f64 v[176:177], v[86:87], v[144:145]
	s_waitcnt vmcnt(0)
	v_mul_f64 v[178:179], v[184:185], v[156:157]
	v_fma_f64 v[172:173], v[172:173], -0.5, v[16:17]
	v_mul_f64 v[144:145], v[10:11], v[144:145]
	v_mul_f64 v[156:157], v[12:13], v[156:157]
	;; [unrolled: 1-line block ×3, first 2 shown]
	v_fma_f64 v[133:134], v[56:57], s[6:7], v[182:183]
	v_add_f64 v[152:153], v[170:171], v[174:175]
	v_fma_f64 v[10:11], v[10:11], v[142:143], -v[176:177]
	v_fma_f64 v[176:177], v[12:13], v[154:155], -v[178:179]
	v_add_f64 v[12:13], v[16:17], v[158:159]
	buffer_load_dword v16, off, s[60:63], 0 ; 4-byte Folded Reload
	v_fma_f64 v[164:165], v[56:57], s[4:5], v[164:165]
	v_fma_f64 v[141:142], v[86:87], v[142:143], v[144:145]
	;; [unrolled: 1-line block ×3, first 2 shown]
	v_fma_f64 v[0:1], v[0:1], v[146:147], -v[148:149]
	v_fma_f64 v[90:91], v[6:7], v[150:151], -v[90:91]
	v_add_f64 v[145:146], v[10:11], -v[176:177]
	v_add_f64 v[12:13], v[168:169], v[12:13]
	v_fma_f64 v[133:134], v[162:163], s[0:1], v[133:134]
	v_add_f64 v[88:89], v[192:193], v[88:89]
	v_add_f64 v[86:87], v[141:142], -v[170:171]
	v_add_f64 v[143:144], v[154:155], -v[174:175]
	v_add_f64 v[149:150], v[141:142], v[154:155]
	v_add_f64 v[147:148], v[0:1], -v[90:91]
	v_add_f64 v[156:157], v[174:175], -v[154:155]
	v_add_f64 v[137:138], v[12:13], v[137:138]
	v_add_f64 v[143:144], v[86:87], v[143:144]
	;; [unrolled: 1-line block ×3, first 2 shown]
	v_add_f64 v[137:138], v[170:171], -v[141:142]
	v_add_f64 v[137:138], v[137:138], v[156:157]
	s_waitcnt vmcnt(0)
	ds_read_b64 v[158:159], v16
	v_fma_f64 v[16:17], v[56:57], s[10:11], v[172:173]
	v_fma_f64 v[56:57], v[56:57], s[12:13], v[172:173]
	s_waitcnt lgkmcnt(0)
	v_fma_f64 v[6:7], v[152:153], -0.5, v[158:159]
	v_fma_f64 v[149:150], v[149:150], -0.5, v[158:159]
	v_fma_f64 v[16:17], v[139:140], s[6:7], v[16:17]
	v_fma_f64 v[56:57], v[139:140], s[4:5], v[56:57]
	;; [unrolled: 1-line block ×8, first 2 shown]
	v_add_f64 v[164:165], v[90:91], -v[176:177]
	v_fma_f64 v[151:152], v[147:148], s[4:5], v[151:152]
	v_fma_f64 v[56:57], v[147:148], s[6:7], v[139:140]
	;; [unrolled: 1-line block ×3, first 2 shown]
	v_add_f64 v[149:150], v[170:171], v[158:159]
	v_add_f64 v[158:159], v[141:142], -v[154:155]
	v_fma_f64 v[156:157], v[145:146], s[4:5], v[160:161]
	v_add_f64 v[160:161], v[176:177], -v[90:91]
	v_fma_f64 v[139:140], v[143:144], s[0:1], v[151:152]
	v_add_f64 v[151:152], v[0:1], v[90:91]
	v_fma_f64 v[143:144], v[143:144], s[0:1], v[56:57]
	v_add_f64 v[56:57], v[10:11], v[176:177]
	v_fma_f64 v[145:146], v[145:146], s[6:7], v[147:148]
	v_add_f64 v[141:142], v[141:142], v[149:150]
	v_add_f64 v[147:148], v[170:171], -v[174:175]
	v_add_f64 v[149:150], v[10:11], -v[0:1]
	v_fma_f64 v[151:152], v[151:152], -0.5, v[124:125]
	v_fma_f64 v[56:57], v[56:57], -0.5, v[124:125]
	v_add_f64 v[124:125], v[124:125], v[0:1]
	v_add_f64 v[0:1], v[0:1], -v[10:11]
	v_fma_f64 v[162:163], v[158:159], s[12:13], v[151:152]
	v_fma_f64 v[151:152], v[158:159], s[10:11], v[151:152]
	;; [unrolled: 1-line block ×3, first 2 shown]
	v_add_f64 v[10:11], v[10:11], v[124:125]
	v_add_f64 v[124:125], v[154:155], v[141:142]
	;; [unrolled: 1-line block ×3, first 2 shown]
	v_fma_f64 v[56:57], v[147:148], s[12:13], v[56:57]
	v_add_f64 v[0:1], v[0:1], v[164:165]
	v_fma_f64 v[149:150], v[147:148], s[6:7], v[162:163]
	v_fma_f64 v[153:154], v[147:148], s[4:5], v[151:152]
	v_fma_f64 v[147:148], v[137:138], s[0:1], v[156:157]
	v_add_f64 v[10:11], v[10:11], v[176:177]
	v_fma_f64 v[151:152], v[137:138], s[0:1], v[145:146]
	v_fma_f64 v[160:161], v[158:159], s[6:7], v[166:167]
	;; [unrolled: 4-line block ×3, first 2 shown]
	v_add_f64 v[153:154], v[10:11], v[90:91]
	buffer_load_dword v10, off, s[60:63], 0 offset:4 ; 4-byte Folded Reload
	buffer_load_dword v11, off, s[60:63], 0 offset:8 ; 4-byte Folded Reload
	v_fma_f64 v[145:146], v[0:1], s[0:1], v[160:161]
	v_fma_f64 v[149:150], v[0:1], s[0:1], v[56:57]
	v_mov_b32_e32 v0, s3
	s_mov_b32 s0, 0x44d72045
	s_movk_i32 s1, 0x220
	s_waitcnt vmcnt(1)
	v_add_co_u32_e32 v10, vcc, s2, v10
	s_waitcnt vmcnt(0)
	v_addc_co_u32_e32 v11, vcc, v0, v11, vcc
	v_lshlrev_b64 v[0:1], 4, v[234:235]
	s_movk_i32 s2, 0x440
	v_add_co_u32_e32 v0, vcc, v10, v0
	v_addc_co_u32_e32 v1, vcc, v11, v1, vcc
	v_add_co_u32_e32 v10, vcc, s9, v0
	v_addc_co_u32_e32 v11, vcc, 0, v1, vcc
	global_store_dwordx4 v[0:1], v[153:156], off
	global_store_dwordx4 v[0:1], v[149:152], off offset:1904
	global_store_dwordx4 v[0:1], v[141:144], off offset:3808
	global_store_dwordx4 v[10:11], v[137:140], off offset:1616
	global_store_dwordx4 v[10:11], v[145:148], off offset:3520
	global_store_dwordx4 v[0:1], v[86:89], off offset:272
	global_store_dwordx4 v[0:1], v[16:19], off offset:2176
	global_store_dwordx4 v[0:1], v[6:9], off offset:4080
	global_store_dwordx4 v[10:11], v[133:136], off offset:1888
	global_store_dwordx4 v[10:11], v[12:15], off offset:3792
	v_mul_hi_u32 v16, v128, s0
	v_lshrrev_b32_e32 v6, 5, v16
	v_mul_u32_u24_e32 v126, 0x1dc, v6
	v_lshlrev_b64 v[6:7], 4, v[126:127]
	v_add_co_u32_e32 v6, vcc, v0, v6
	v_addc_co_u32_e32 v7, vcc, v1, v7, vcc
	v_add_co_u32_e32 v8, vcc, s1, v6
	v_addc_co_u32_e32 v9, vcc, 0, v7, vcc
	global_store_dwordx4 v[6:7], v[24:27], off offset:544
	global_store_dwordx4 v[6:7], v[20:23], off offset:2448
	;; [unrolled: 1-line block ×3, first 2 shown]
	v_mul_hi_u32 v8, v132, s0
	v_add_co_u32_e32 v6, vcc, s9, v6
	v_addc_co_u32_e32 v7, vcc, 0, v7, vcc
	global_store_dwordx4 v[6:7], v[116:119], off offset:2160
	global_store_dwordx4 v[6:7], v[2:5], off offset:4064
	s_movk_i32 s1, 0x330
	v_lshrrev_b32_e32 v2, 5, v8
	v_mul_u32_u24_e32 v126, 0x1dc, v2
	v_lshlrev_b64 v[2:3], 4, v[126:127]
	v_add_co_u32_e32 v2, vcc, v0, v2
	v_addc_co_u32_e32 v3, vcc, v1, v3, vcc
	v_add_co_u32_e32 v4, vcc, s1, v2
	v_addc_co_u32_e32 v5, vcc, 0, v3, vcc
	global_store_dwordx4 v[2:3], v[36:39], off offset:816
	global_store_dwordx4 v[2:3], v[32:35], off offset:2720
	;; [unrolled: 1-line block ×3, first 2 shown]
	v_add_co_u32_e32 v4, vcc, s9, v2
	v_addc_co_u32_e32 v5, vcc, 0, v3, vcc
	global_store_dwordx4 v[4:5], v[108:111], off offset:2432
	v_mul_hi_u32 v4, v131, s0
	s_movk_i32 s1, 0x2000
	v_add_co_u32_e32 v2, vcc, s1, v2
	v_addc_co_u32_e32 v3, vcc, 0, v3, vcc
	global_store_dwordx4 v[2:3], v[28:31], off offset:240
	v_lshrrev_b32_e32 v2, 5, v4
	v_mul_u32_u24_e32 v126, 0x1dc, v2
	v_lshlrev_b64 v[2:3], 4, v[126:127]
	v_add_co_u32_e32 v2, vcc, v0, v2
	v_addc_co_u32_e32 v3, vcc, v1, v3, vcc
	v_add_co_u32_e32 v4, vcc, s2, v2
	v_addc_co_u32_e32 v5, vcc, 0, v3, vcc
	global_store_dwordx4 v[2:3], v[104:107], off offset:1088
	global_store_dwordx4 v[2:3], v[100:103], off offset:2992
	;; [unrolled: 1-line block ×3, first 2 shown]
	v_add_co_u32_e32 v4, vcc, s9, v2
	v_addc_co_u32_e32 v5, vcc, 0, v3, vcc
	global_store_dwordx4 v[4:5], v[96:99], off offset:2704
	v_mul_hi_u32 v4, v130, s0
	v_add_co_u32_e32 v2, vcc, s1, v2
	v_addc_co_u32_e32 v3, vcc, 0, v3, vcc
	global_store_dwordx4 v[2:3], v[40:43], off offset:512
	v_lshrrev_b32_e32 v2, 5, v4
	v_mul_u32_u24_e32 v126, 0x1dc, v2
	v_lshlrev_b64 v[2:3], 4, v[126:127]
	s_movk_i32 s2, 0x550
	v_add_co_u32_e32 v2, vcc, v0, v2
	v_addc_co_u32_e32 v3, vcc, v1, v3, vcc
	v_add_co_u32_e32 v4, vcc, s2, v2
	v_addc_co_u32_e32 v5, vcc, 0, v3, vcc
	global_store_dwordx4 v[2:3], v[92:95], off offset:1360
	global_store_dwordx4 v[2:3], v[52:55], off offset:3264
	;; [unrolled: 1-line block ×3, first 2 shown]
	v_add_co_u32_e32 v4, vcc, s9, v2
	v_addc_co_u32_e32 v5, vcc, 0, v3, vcc
	global_store_dwordx4 v[4:5], v[78:81], off offset:2976
	v_mul_hi_u32 v4, v129, s0
	v_add_co_u32_e32 v2, vcc, s1, v2
	v_addc_co_u32_e32 v3, vcc, 0, v3, vcc
	global_store_dwordx4 v[2:3], v[48:51], off offset:784
	v_lshrrev_b32_e32 v2, 5, v4
	v_mul_u32_u24_e32 v126, 0x1dc, v2
	v_lshlrev_b64 v[2:3], 4, v[126:127]
	v_add_co_u32_e32 v0, vcc, v0, v2
	v_addc_co_u32_e32 v1, vcc, v1, v3, vcc
	v_add_co_u32_e32 v2, vcc, 0x660, v0
	v_addc_co_u32_e32 v3, vcc, 0, v1, vcc
	global_store_dwordx4 v[0:1], v[70:73], off offset:1632
	global_store_dwordx4 v[0:1], v[74:77], off offset:3536
	;; [unrolled: 1-line block ×3, first 2 shown]
	v_add_co_u32_e32 v2, vcc, 0x1000, v0
	v_addc_co_u32_e32 v3, vcc, 0, v1, vcc
	v_add_co_u32_e32 v0, vcc, 0x2000, v0
	v_addc_co_u32_e32 v1, vcc, 0, v1, vcc
	global_store_dwordx4 v[2:3], v[62:65], off offset:3248
	global_store_dwordx4 v[0:1], v[58:61], off offset:1056
.LBB0_20:
	s_endpgm
	.section	.rodata,"a",@progbits
	.p2align	6, 0x0
	.amdhsa_kernel fft_rtc_fwd_len595_factors_7_17_5_wgs_51_tpt_17_halfLds_dp_ip_CI_unitstride_sbrr_dirReg
		.amdhsa_group_segment_fixed_size 0
		.amdhsa_private_segment_fixed_size 392
		.amdhsa_kernarg_size 88
		.amdhsa_user_sgpr_count 6
		.amdhsa_user_sgpr_private_segment_buffer 1
		.amdhsa_user_sgpr_dispatch_ptr 0
		.amdhsa_user_sgpr_queue_ptr 0
		.amdhsa_user_sgpr_kernarg_segment_ptr 1
		.amdhsa_user_sgpr_dispatch_id 0
		.amdhsa_user_sgpr_flat_scratch_init 0
		.amdhsa_user_sgpr_private_segment_size 0
		.amdhsa_uses_dynamic_stack 0
		.amdhsa_system_sgpr_private_segment_wavefront_offset 1
		.amdhsa_system_sgpr_workgroup_id_x 1
		.amdhsa_system_sgpr_workgroup_id_y 0
		.amdhsa_system_sgpr_workgroup_id_z 0
		.amdhsa_system_sgpr_workgroup_info 0
		.amdhsa_system_vgpr_workitem_id 0
		.amdhsa_next_free_vgpr 256
		.amdhsa_next_free_sgpr 64
		.amdhsa_reserve_vcc 1
		.amdhsa_reserve_flat_scratch 0
		.amdhsa_float_round_mode_32 0
		.amdhsa_float_round_mode_16_64 0
		.amdhsa_float_denorm_mode_32 3
		.amdhsa_float_denorm_mode_16_64 3
		.amdhsa_dx10_clamp 1
		.amdhsa_ieee_mode 1
		.amdhsa_fp16_overflow 0
		.amdhsa_exception_fp_ieee_invalid_op 0
		.amdhsa_exception_fp_denorm_src 0
		.amdhsa_exception_fp_ieee_div_zero 0
		.amdhsa_exception_fp_ieee_overflow 0
		.amdhsa_exception_fp_ieee_underflow 0
		.amdhsa_exception_fp_ieee_inexact 0
		.amdhsa_exception_int_div_zero 0
	.end_amdhsa_kernel
	.text
.Lfunc_end0:
	.size	fft_rtc_fwd_len595_factors_7_17_5_wgs_51_tpt_17_halfLds_dp_ip_CI_unitstride_sbrr_dirReg, .Lfunc_end0-fft_rtc_fwd_len595_factors_7_17_5_wgs_51_tpt_17_halfLds_dp_ip_CI_unitstride_sbrr_dirReg
                                        ; -- End function
	.section	.AMDGPU.csdata,"",@progbits
; Kernel info:
; codeLenInByte = 34816
; NumSgprs: 68
; NumVgprs: 256
; ScratchSize: 392
; MemoryBound: 1
; FloatMode: 240
; IeeeMode: 1
; LDSByteSize: 0 bytes/workgroup (compile time only)
; SGPRBlocks: 8
; VGPRBlocks: 63
; NumSGPRsForWavesPerEU: 68
; NumVGPRsForWavesPerEU: 256
; Occupancy: 1
; WaveLimiterHint : 1
; COMPUTE_PGM_RSRC2:SCRATCH_EN: 1
; COMPUTE_PGM_RSRC2:USER_SGPR: 6
; COMPUTE_PGM_RSRC2:TRAP_HANDLER: 0
; COMPUTE_PGM_RSRC2:TGID_X_EN: 1
; COMPUTE_PGM_RSRC2:TGID_Y_EN: 0
; COMPUTE_PGM_RSRC2:TGID_Z_EN: 0
; COMPUTE_PGM_RSRC2:TIDIG_COMP_CNT: 0
	.type	__hip_cuid_535b3ccdd514dbb0,@object ; @__hip_cuid_535b3ccdd514dbb0
	.section	.bss,"aw",@nobits
	.globl	__hip_cuid_535b3ccdd514dbb0
__hip_cuid_535b3ccdd514dbb0:
	.byte	0                               ; 0x0
	.size	__hip_cuid_535b3ccdd514dbb0, 1

	.ident	"AMD clang version 19.0.0git (https://github.com/RadeonOpenCompute/llvm-project roc-6.4.0 25133 c7fe45cf4b819c5991fe208aaa96edf142730f1d)"
	.section	".note.GNU-stack","",@progbits
	.addrsig
	.addrsig_sym __hip_cuid_535b3ccdd514dbb0
	.amdgpu_metadata
---
amdhsa.kernels:
  - .args:
      - .actual_access:  read_only
        .address_space:  global
        .offset:         0
        .size:           8
        .value_kind:     global_buffer
      - .offset:         8
        .size:           8
        .value_kind:     by_value
      - .actual_access:  read_only
        .address_space:  global
        .offset:         16
        .size:           8
        .value_kind:     global_buffer
      - .actual_access:  read_only
        .address_space:  global
        .offset:         24
        .size:           8
        .value_kind:     global_buffer
      - .offset:         32
        .size:           8
        .value_kind:     by_value
      - .actual_access:  read_only
        .address_space:  global
        .offset:         40
        .size:           8
        .value_kind:     global_buffer
      - .actual_access:  read_only
        .address_space:  global
        .offset:         48
        .size:           8
        .value_kind:     global_buffer
      - .offset:         56
        .size:           4
        .value_kind:     by_value
      - .actual_access:  read_only
        .address_space:  global
        .offset:         64
        .size:           8
        .value_kind:     global_buffer
      - .actual_access:  read_only
        .address_space:  global
        .offset:         72
        .size:           8
        .value_kind:     global_buffer
      - .address_space:  global
        .offset:         80
        .size:           8
        .value_kind:     global_buffer
    .group_segment_fixed_size: 0
    .kernarg_segment_align: 8
    .kernarg_segment_size: 88
    .language:       OpenCL C
    .language_version:
      - 2
      - 0
    .max_flat_workgroup_size: 51
    .name:           fft_rtc_fwd_len595_factors_7_17_5_wgs_51_tpt_17_halfLds_dp_ip_CI_unitstride_sbrr_dirReg
    .private_segment_fixed_size: 392
    .sgpr_count:     68
    .sgpr_spill_count: 0
    .symbol:         fft_rtc_fwd_len595_factors_7_17_5_wgs_51_tpt_17_halfLds_dp_ip_CI_unitstride_sbrr_dirReg.kd
    .uniform_work_group_size: 1
    .uses_dynamic_stack: false
    .vgpr_count:     256
    .vgpr_spill_count: 97
    .wavefront_size: 64
amdhsa.target:   amdgcn-amd-amdhsa--gfx906
amdhsa.version:
  - 1
  - 2
...

	.end_amdgpu_metadata
